;; amdgpu-corpus repo=ROCm/rocFFT kind=compiled arch=gfx1201 opt=O3
	.text
	.amdgcn_target "amdgcn-amd-amdhsa--gfx1201"
	.amdhsa_code_object_version 6
	.protected	bluestein_single_fwd_len2592_dim1_dp_op_CI_CI ; -- Begin function bluestein_single_fwd_len2592_dim1_dp_op_CI_CI
	.globl	bluestein_single_fwd_len2592_dim1_dp_op_CI_CI
	.p2align	8
	.type	bluestein_single_fwd_len2592_dim1_dp_op_CI_CI,@function
bluestein_single_fwd_len2592_dim1_dp_op_CI_CI: ; @bluestein_single_fwd_len2592_dim1_dp_op_CI_CI
; %bb.0:
	s_load_b128 s[16:19], s[0:1], 0x28
	v_mul_u32_u24_e32 v1, 0x130, v0
	s_mov_b32 s2, exec_lo
	v_mov_b32_e32 v173, 0
	s_delay_alu instid0(VALU_DEP_2) | instskip(NEXT) | instid1(VALU_DEP_1)
	v_lshrrev_b32_e32 v1, 16, v1
	v_add_nc_u32_e32 v172, ttmp9, v1
	s_wait_kmcnt 0x0
	s_delay_alu instid0(VALU_DEP_1)
	v_cmpx_gt_u64_e64 s[16:17], v[172:173]
	s_cbranch_execz .LBB0_2
; %bb.1:
	s_clause 0x1
	s_load_b128 s[4:7], s[0:1], 0x18
	s_load_b128 s[8:11], s[0:1], 0x0
	v_mul_lo_u16 v1, 0xd8, v1
	s_load_b64 s[0:1], s[0:1], 0x38
	s_delay_alu instid0(VALU_DEP_1) | instskip(NEXT) | instid1(VALU_DEP_1)
	v_sub_nc_u16 v112, v0, v1
	v_and_b32_e32 v173, 0xffff, v112
	s_delay_alu instid0(VALU_DEP_1)
	v_lshlrev_b32_e32 v174, 4, v173
	s_wait_kmcnt 0x0
	s_load_b128 s[12:15], s[4:5], 0x0
	s_wait_kmcnt 0x0
	v_mad_co_u64_u32 v[0:1], null, s14, v172, 0
	v_mad_co_u64_u32 v[2:3], null, s12, v173, 0
	s_mul_u64 s[2:3], s[12:13], 0x1b00
	s_mul_i32 s4, s13, 0xffff8680
	s_delay_alu instid0(SALU_CYCLE_1) | instskip(NEXT) | instid1(VALU_DEP_1)
	s_sub_co_i32 s4, s4, s12
	v_mad_co_u64_u32 v[4:5], null, s15, v172, v[1:2]
	s_delay_alu instid0(VALU_DEP_1) | instskip(SKIP_2) | instid1(VALU_DEP_1)
	v_mad_co_u64_u32 v[5:6], null, s13, v173, v[3:4]
	v_mov_b32_e32 v1, v4
	s_mov_b32 s13, 0xbfebb67a
	v_lshlrev_b64_e32 v[0:1], 4, v[0:1]
	s_delay_alu instid0(VALU_DEP_3) | instskip(NEXT) | instid1(VALU_DEP_2)
	v_mov_b32_e32 v3, v5
	v_add_co_u32 v0, vcc_lo, s18, v0
	s_delay_alu instid0(VALU_DEP_2) | instskip(NEXT) | instid1(VALU_DEP_4)
	v_lshlrev_b64_e32 v[2:3], 4, v[2:3]
	v_add_co_ci_u32_e32 v1, vcc_lo, s19, v1, vcc_lo
	s_delay_alu instid0(VALU_DEP_2) | instskip(SKIP_1) | instid1(VALU_DEP_2)
	v_add_co_u32 v8, vcc_lo, v0, v2
	s_wait_alu 0xfffd
	v_add_co_ci_u32_e32 v9, vcc_lo, v1, v3, vcc_lo
	global_load_b128 v[0:3], v174, s[8:9]
	global_load_b128 v[4:7], v[8:9], off
	s_wait_loadcnt 0x0
	v_mul_f64_e32 v[12:13], v[4:5], v[2:3]
	v_mul_f64_e32 v[10:11], v[6:7], v[2:3]
	s_delay_alu instid0(VALU_DEP_2) | instskip(SKIP_3) | instid1(VALU_DEP_4)
	v_fma_f64 v[50:51], v[6:7], v[0:1], -v[12:13]
	v_add_co_u32 v12, vcc_lo, v8, s2
	s_wait_alu 0xfffd
	v_add_co_ci_u32_e32 v13, vcc_lo, s3, v9, vcc_lo
	v_fma_f64 v[48:49], v[4:5], v[0:1], v[10:11]
	global_load_b128 v[4:7], v174, s[8:9] offset:6912
	global_load_b128 v[8:11], v[12:13], off
	s_wait_loadcnt 0x0
	v_mul_f64_e32 v[16:17], v[8:9], v[6:7]
	v_mul_f64_e32 v[14:15], v[10:11], v[6:7]
	s_delay_alu instid0(VALU_DEP_2) | instskip(SKIP_3) | instid1(VALU_DEP_4)
	v_fma_f64 v[54:55], v[10:11], v[4:5], -v[16:17]
	v_add_co_u32 v16, vcc_lo, v12, s2
	s_wait_alu 0xfffd
	v_add_co_ci_u32_e32 v17, vcc_lo, s3, v13, vcc_lo
	v_fma_f64 v[52:53], v[8:9], v[4:5], v[14:15]
	global_load_b128 v[8:11], v174, s[8:9] offset:13824
	global_load_b128 v[12:15], v[16:17], off
	s_wait_loadcnt 0x0
	v_mul_f64_e32 v[20:21], v[12:13], v[10:11]
	v_mul_f64_e32 v[18:19], v[14:15], v[10:11]
	s_delay_alu instid0(VALU_DEP_2) | instskip(SKIP_3) | instid1(VALU_DEP_4)
	v_fma_f64 v[58:59], v[14:15], v[8:9], -v[20:21]
	v_add_co_u32 v20, vcc_lo, v16, s2
	s_wait_alu 0xfffd
	v_add_co_ci_u32_e32 v21, vcc_lo, s3, v17, vcc_lo
	v_fma_f64 v[56:57], v[12:13], v[8:9], v[18:19]
	global_load_b128 v[12:15], v174, s[8:9] offset:20736
	global_load_b128 v[16:19], v[20:21], off
	s_wait_loadcnt 0x0
	v_mul_f64_e32 v[24:25], v[16:17], v[14:15]
	v_mul_f64_e32 v[22:23], v[18:19], v[14:15]
	s_delay_alu instid0(VALU_DEP_2) | instskip(SKIP_3) | instid1(VALU_DEP_4)
	v_fma_f64 v[62:63], v[18:19], v[12:13], -v[24:25]
	v_add_co_u32 v24, vcc_lo, v20, s2
	s_wait_alu 0xfffd
	v_add_co_ci_u32_e32 v25, vcc_lo, s3, v21, vcc_lo
	v_fma_f64 v[60:61], v[16:17], v[12:13], v[22:23]
	global_load_b128 v[16:19], v174, s[8:9] offset:27648
	global_load_b128 v[20:23], v[24:25], off
	s_wait_loadcnt 0x0
	v_mul_f64_e32 v[28:29], v[20:21], v[18:19]
	v_mul_f64_e32 v[26:27], v[22:23], v[18:19]
	s_delay_alu instid0(VALU_DEP_2) | instskip(SKIP_3) | instid1(VALU_DEP_4)
	v_fma_f64 v[66:67], v[22:23], v[16:17], -v[28:29]
	v_add_co_u32 v28, vcc_lo, v24, s2
	s_wait_alu 0xfffd
	v_add_co_ci_u32_e32 v29, vcc_lo, s3, v25, vcc_lo
	v_fma_f64 v[64:65], v[20:21], v[16:17], v[26:27]
	global_load_b128 v[20:23], v174, s[8:9] offset:34560
	global_load_b128 v[24:27], v[28:29], off
	s_wait_loadcnt 0x0
	v_mul_f64_e32 v[32:33], v[24:25], v[22:23]
	v_mul_f64_e32 v[30:31], v[26:27], v[22:23]
	s_delay_alu instid0(VALU_DEP_2) | instskip(SKIP_1) | instid1(VALU_DEP_3)
	v_fma_f64 v[70:71], v[26:27], v[20:21], -v[32:33]
	v_mad_co_u64_u32 v[32:33], null, 0xffff8680, s12, v[28:29]
	v_fma_f64 v[68:69], v[24:25], v[20:21], v[30:31]
	s_delay_alu instid0(VALU_DEP_2)
	v_add_nc_u32_e32 v33, s4, v33
	global_load_b128 v[24:27], v174, s[8:9] offset:3456
	global_load_b128 v[28:31], v[32:33], off
	s_wait_loadcnt 0x0
	v_mul_f64_e32 v[36:37], v[28:29], v[26:27]
	v_mul_f64_e32 v[34:35], v[30:31], v[26:27]
	s_delay_alu instid0(VALU_DEP_2) | instskip(SKIP_3) | instid1(VALU_DEP_4)
	v_fma_f64 v[74:75], v[30:31], v[24:25], -v[36:37]
	v_add_co_u32 v36, vcc_lo, v32, s2
	s_wait_alu 0xfffd
	v_add_co_ci_u32_e32 v37, vcc_lo, s3, v33, vcc_lo
	v_fma_f64 v[72:73], v[28:29], v[24:25], v[34:35]
	global_load_b128 v[28:31], v174, s[8:9] offset:10368
	global_load_b128 v[32:35], v[36:37], off
	s_wait_loadcnt 0x0
	v_mul_f64_e32 v[40:41], v[32:33], v[30:31]
	v_mul_f64_e32 v[38:39], v[34:35], v[30:31]
	s_delay_alu instid0(VALU_DEP_2) | instskip(SKIP_3) | instid1(VALU_DEP_4)
	v_fma_f64 v[78:79], v[34:35], v[28:29], -v[40:41]
	v_add_co_u32 v40, vcc_lo, v36, s2
	s_wait_alu 0xfffd
	v_add_co_ci_u32_e32 v41, vcc_lo, s3, v37, vcc_lo
	v_fma_f64 v[76:77], v[32:33], v[28:29], v[38:39]
	;; [unrolled: 11-line block ×3, first 2 shown]
	global_load_b128 v[36:39], v174, s[8:9] offset:24192
	global_load_b128 v[40:43], v[44:45], off
	v_add_co_u32 v92, vcc_lo, v44, s2
	s_wait_alu 0xfffd
	v_add_co_ci_u32_e32 v93, vcc_lo, s3, v45, vcc_lo
	s_wait_loadcnt 0x0
	v_mul_f64_e32 v[46:47], v[42:43], v[38:39]
	v_mul_f64_e32 v[86:87], v[40:41], v[38:39]
	s_delay_alu instid0(VALU_DEP_2) | instskip(NEXT) | instid1(VALU_DEP_2)
	v_fma_f64 v[84:85], v[40:41], v[36:37], v[46:47]
	v_fma_f64 v[86:87], v[42:43], v[36:37], -v[86:87]
	global_load_b128 v[40:43], v174, s[8:9] offset:31104
	global_load_b128 v[44:47], v[92:93], off
	s_wait_loadcnt 0x0
	v_mul_f64_e32 v[88:89], v[46:47], v[42:43]
	v_mul_f64_e32 v[90:91], v[44:45], v[42:43]
	s_delay_alu instid0(VALU_DEP_2) | instskip(SKIP_3) | instid1(VALU_DEP_4)
	v_fma_f64 v[88:89], v[44:45], v[40:41], v[88:89]
	v_add_co_u32 v44, vcc_lo, v92, s2
	s_wait_alu 0xfffd
	v_add_co_ci_u32_e32 v45, vcc_lo, s3, v93, vcc_lo
	v_fma_f64 v[90:91], v[46:47], v[40:41], -v[90:91]
	global_load_b128 v[92:95], v[44:45], off
	global_load_b128 v[44:47], v174, s[8:9] offset:38016
	s_mov_b32 s2, 0xe8584caa
	s_mov_b32 s3, 0x3febb67a
	s_wait_alu 0xfffe
	s_mov_b32 s12, s2
	s_wait_loadcnt 0x0
	v_mul_f64_e32 v[96:97], v[94:95], v[46:47]
	v_mul_f64_e32 v[98:99], v[92:93], v[46:47]
	s_delay_alu instid0(VALU_DEP_2) | instskip(NEXT) | instid1(VALU_DEP_2)
	v_fma_f64 v[92:93], v[92:93], v[44:45], v[96:97]
	v_fma_f64 v[94:95], v[94:95], v[44:45], -v[98:99]
	ds_store_b128 v174, v[48:51]
	ds_store_b128 v174, v[52:55] offset:6912
	ds_store_b128 v174, v[56:59] offset:13824
	;; [unrolled: 1-line block ×11, first 2 shown]
	s_load_b128 s[4:7], s[6:7], 0x0
	global_wb scope:SCOPE_SE
	s_wait_dscnt 0x0
	s_wait_kmcnt 0x0
	s_barrier_signal -1
	s_barrier_wait -1
	global_inv scope:SCOPE_SE
	ds_load_b128 v[48:51], v174 offset:13824
	ds_load_b128 v[52:55], v174
	ds_load_b128 v[56:59], v174 offset:27648
	s_wait_dscnt 0x1
	v_add_f64_e32 v[60:61], v[52:53], v[48:49]
	v_add_f64_e32 v[62:63], v[54:55], v[50:51]
	s_wait_dscnt 0x0
	v_add_f64_e32 v[72:73], v[48:49], v[56:57]
	v_add_f64_e32 v[74:75], v[50:51], v[58:59]
	v_add_f64_e64 v[76:77], v[50:51], -v[58:59]
	v_add_f64_e64 v[78:79], v[48:49], -v[56:57]
	v_add_f64_e32 v[80:81], v[60:61], v[56:57]
	v_add_f64_e32 v[82:83], v[62:63], v[58:59]
	ds_load_b128 v[48:51], v174 offset:20736
	ds_load_b128 v[56:59], v174 offset:6912
	;; [unrolled: 1-line block ×3, first 2 shown]
	v_fma_f64 v[72:73], v[72:73], -0.5, v[52:53]
	v_fma_f64 v[74:75], v[74:75], -0.5, v[54:55]
	s_wait_dscnt 0x1
	v_add_f64_e32 v[64:65], v[56:57], v[48:49]
	v_add_f64_e32 v[66:67], v[58:59], v[50:51]
	s_wait_dscnt 0x0
	v_add_f64_e32 v[84:85], v[50:51], v[62:63]
	v_add_f64_e32 v[86:87], v[48:49], v[60:61]
	v_add_f64_e64 v[88:89], v[50:51], -v[62:63]
	v_add_f64_e64 v[90:91], v[48:49], -v[60:61]
	v_add_f64_e32 v[92:93], v[64:65], v[60:61]
	v_add_f64_e32 v[94:95], v[66:67], v[62:63]
	ds_load_b128 v[48:51], v174 offset:17280
	ds_load_b128 v[60:63], v174 offset:3456
	;; [unrolled: 1-line block ×3, first 2 shown]
	v_fma_f64 v[84:85], v[84:85], -0.5, v[58:59]
	v_fma_f64 v[86:87], v[86:87], -0.5, v[56:57]
	s_wait_dscnt 0x1
	v_add_f64_e32 v[68:69], v[60:61], v[48:49]
	v_add_f64_e32 v[70:71], v[62:63], v[50:51]
	s_wait_dscnt 0x0
	v_add_f64_e32 v[96:97], v[48:49], v[64:65]
	v_add_f64_e32 v[98:99], v[50:51], v[66:67]
	v_add_f64_e64 v[100:101], v[50:51], -v[66:67]
	v_add_f64_e64 v[102:103], v[48:49], -v[64:65]
	v_add_f64_e64 v[52:53], v[80:81], -v[92:93]
	v_add_f64_e64 v[54:55], v[82:83], -v[94:95]
	v_add_f64_e32 v[104:105], v[68:69], v[64:65]
	v_add_f64_e32 v[106:107], v[70:71], v[66:67]
	ds_load_b128 v[48:51], v174 offset:24192
	ds_load_b128 v[64:67], v174 offset:10368
	;; [unrolled: 1-line block ×3, first 2 shown]
	v_fma_f64 v[96:97], v[96:97], -0.5, v[60:61]
	v_fma_f64 v[98:99], v[98:99], -0.5, v[62:63]
	global_wb scope:SCOPE_SE
	s_wait_dscnt 0x0
	s_barrier_signal -1
	s_barrier_wait -1
	global_inv scope:SCOPE_SE
	v_add_f64_e32 v[108:109], v[64:65], v[48:49]
	v_add_f64_e32 v[110:111], v[66:67], v[50:51]
	;; [unrolled: 1-line block ×4, first 2 shown]
	v_add_f64_e64 v[117:118], v[50:51], -v[70:71]
	v_add_f64_e64 v[119:120], v[48:49], -v[68:69]
	v_add_f64_e32 v[48:49], v[80:81], v[92:93]
	v_fma_f64 v[80:81], v[76:77], s[2:3], v[72:73]
	v_add_f64_e32 v[50:51], v[82:83], v[94:95]
	v_fma_f64 v[82:83], v[78:79], s[12:13], v[74:75]
	v_fma_f64 v[76:77], v[76:77], s[12:13], v[72:73]
	;; [unrolled: 1-line block ×5, first 2 shown]
	v_add_f64_e32 v[68:69], v[108:109], v[68:69]
	v_add_f64_e32 v[70:71], v[110:111], v[70:71]
	v_fma_f64 v[110:111], v[115:116], -0.5, v[64:65]
	v_fma_f64 v[64:65], v[90:91], s[12:13], v[84:85]
	v_fma_f64 v[108:109], v[113:114], -0.5, v[66:67]
	v_fma_f64 v[66:67], v[88:89], s[2:3], v[86:87]
	v_add_co_u32 v113, null, 0xd8, v173
	v_and_b32_e32 v114, 0xff, v112
	s_delay_alu instid0(VALU_DEP_2)
	v_and_b32_e32 v115, 0xffff, v113
	v_add_f64_e32 v[56:57], v[104:105], v[68:69]
	v_add_f64_e64 v[60:61], v[104:105], -v[68:69]
	v_add_f64_e32 v[58:59], v[106:107], v[70:71]
	v_mul_f64_e32 v[68:69], s[2:3], v[64:65]
	v_add_f64_e64 v[62:63], v[106:107], -v[70:71]
	s_delay_alu instid0(VALU_DEP_2) | instskip(SKIP_1) | instid1(VALU_DEP_1)
	v_fma_f64 v[68:69], v[66:67], 0.5, v[68:69]
	v_mul_f64_e32 v[66:67], s[12:13], v[66:67]
	v_fma_f64 v[70:71], v[64:65], 0.5, v[66:67]
	s_delay_alu instid0(VALU_DEP_3)
	v_add_f64_e32 v[64:65], v[80:81], v[68:69]
	v_add_f64_e64 v[68:69], v[80:81], -v[68:69]
	v_fma_f64 v[80:81], v[88:89], s[12:13], v[86:87]
	v_fma_f64 v[88:89], v[100:101], s[2:3], v[96:97]
	v_add_f64_e32 v[66:67], v[82:83], v[70:71]
	v_add_f64_e64 v[70:71], v[82:83], -v[70:71]
	v_fma_f64 v[82:83], v[90:91], s[2:3], v[84:85]
	v_mul_f64_e32 v[72:73], -0.5, v[80:81]
	v_fma_f64 v[90:91], v[102:103], s[12:13], v[98:99]
	s_delay_alu instid0(VALU_DEP_2) | instskip(SKIP_2) | instid1(VALU_DEP_2)
	v_fma_f64 v[84:85], v[82:83], s[2:3], v[72:73]
	v_mul_f64_e32 v[72:73], -0.5, v[82:83]
	v_fma_f64 v[82:83], v[117:118], s[2:3], v[110:111]
	v_fma_f64 v[80:81], v[80:81], s[12:13], v[72:73]
	s_delay_alu instid0(VALU_DEP_4) | instskip(SKIP_1) | instid1(VALU_DEP_3)
	v_add_f64_e32 v[72:73], v[76:77], v[84:85]
	v_add_f64_e64 v[76:77], v[76:77], -v[84:85]
	v_add_f64_e32 v[74:75], v[78:79], v[80:81]
	v_add_f64_e64 v[78:79], v[78:79], -v[80:81]
	v_fma_f64 v[80:81], v[119:120], s[12:13], v[108:109]
	s_delay_alu instid0(VALU_DEP_1) | instskip(NEXT) | instid1(VALU_DEP_1)
	v_mul_f64_e32 v[84:85], s[2:3], v[80:81]
	v_fma_f64 v[84:85], v[82:83], 0.5, v[84:85]
	v_mul_f64_e32 v[82:83], s[12:13], v[82:83]
	s_delay_alu instid0(VALU_DEP_1) | instskip(NEXT) | instid1(VALU_DEP_3)
	v_fma_f64 v[86:87], v[80:81], 0.5, v[82:83]
	v_add_f64_e32 v[80:81], v[88:89], v[84:85]
	v_add_f64_e64 v[84:85], v[88:89], -v[84:85]
	v_fma_f64 v[88:89], v[117:118], s[12:13], v[110:111]
	s_delay_alu instid0(VALU_DEP_4) | instskip(SKIP_2) | instid1(VALU_DEP_4)
	v_add_f64_e32 v[82:83], v[90:91], v[86:87]
	v_add_f64_e64 v[86:87], v[90:91], -v[86:87]
	v_fma_f64 v[90:91], v[119:120], s[2:3], v[108:109]
	v_mul_f64_e32 v[96:97], -0.5, v[88:89]
	s_delay_alu instid0(VALU_DEP_1) | instskip(SKIP_1) | instid1(VALU_DEP_1)
	v_fma_f64 v[96:97], v[90:91], s[2:3], v[96:97]
	v_mul_f64_e32 v[90:91], -0.5, v[90:91]
	v_fma_f64 v[98:99], v[88:89], s[12:13], v[90:91]
	s_delay_alu instid0(VALU_DEP_3) | instskip(SKIP_2) | instid1(VALU_DEP_1)
	v_add_f64_e32 v[88:89], v[92:93], v[96:97]
	v_add_f64_e64 v[92:93], v[92:93], -v[96:97]
	v_mul_lo_u16 v96, v112, 6
	v_and_b32_e32 v96, 0xffff, v96
	s_delay_alu instid0(VALU_DEP_1)
	v_lshlrev_b32_e32 v176, 4, v96
	ds_store_b128 v176, v[48:51]
	ds_store_b128 v176, v[52:55] offset:48
	ds_store_b128 v176, v[64:67] offset:16
	;; [unrolled: 1-line block ×5, first 2 shown]
	v_mul_u32_u24_e32 v48, 6, v113
	s_delay_alu instid0(VALU_DEP_1) | instskip(SKIP_1) | instid1(VALU_DEP_1)
	v_lshlrev_b32_e32 v175, 4, v48
	v_mul_lo_u16 v48, 0xab, v114
	v_lshrrev_b16 v117, 10, v48
	s_delay_alu instid0(VALU_DEP_1) | instskip(SKIP_3) | instid1(VALU_DEP_4)
	v_mul_lo_u16 v48, v117, 6
	v_and_b32_e32 v117, 0xffff, v117
	v_add_f64_e32 v[90:91], v[94:95], v[98:99]
	v_add_f64_e64 v[94:95], v[94:95], -v[98:99]
	v_sub_nc_u16 v48, v112, v48
	ds_store_b128 v175, v[56:59]
	ds_store_b128 v175, v[80:83] offset:16
	ds_store_b128 v175, v[88:91] offset:32
	;; [unrolled: 1-line block ×5, first 2 shown]
	v_and_b32_e32 v116, 0xff, v48
	global_wb scope:SCOPE_SE
	s_wait_dscnt 0x0
	s_barrier_signal -1
	s_barrier_wait -1
	global_inv scope:SCOPE_SE
	v_mad_co_u64_u32 v[80:81], null, 0x50, v116, s[10:11]
	ds_load_b128 v[48:51], v174 offset:20736
	v_mul_u32_u24_e32 v117, 36, v117
	s_clause 0x1
	global_load_b128 v[56:59], v[80:81], off offset:32
	global_load_b128 v[68:71], v[80:81], off offset:64
	v_add_lshl_u32 v178, v117, v116, 4
	global_load_b128 v[84:87], v[80:81], off offset:48
	s_wait_loadcnt_dscnt 0x200
	v_mul_f64_e32 v[52:53], v[50:51], v[58:59]
	s_delay_alu instid0(VALU_DEP_1) | instskip(SKIP_1) | instid1(VALU_DEP_1)
	v_fma_f64 v[98:99], v[48:49], v[56:57], -v[52:53]
	v_mul_f64_e32 v[48:49], v[48:49], v[58:59]
	v_fma_f64 v[96:97], v[50:51], v[56:57], v[48:49]
	ds_load_b128 v[48:51], v174 offset:34560
	s_wait_loadcnt_dscnt 0x100
	v_mul_f64_e32 v[52:53], v[48:49], v[70:71]
	s_delay_alu instid0(VALU_DEP_1) | instskip(SKIP_1) | instid1(VALU_DEP_2)
	v_fma_f64 v[100:101], v[50:51], v[68:69], v[52:53]
	v_mul_f64_e32 v[50:51], v[50:51], v[70:71]
	v_add_f64_e64 v[164:165], v[96:97], -v[100:101]
	s_delay_alu instid0(VALU_DEP_2) | instskip(SKIP_1) | instid1(VALU_DEP_1)
	v_fma_f64 v[102:103], v[48:49], v[68:69], -v[50:51]
	v_mul_u32_u24_e32 v48, 0xaaab, v115
	v_lshrrev_b32_e32 v118, 18, v48
	s_delay_alu instid0(VALU_DEP_1) | instskip(NEXT) | instid1(VALU_DEP_1)
	v_mul_lo_u16 v48, v118, 6
	v_sub_nc_u16 v119, v113, v48
	s_delay_alu instid0(VALU_DEP_1) | instskip(NEXT) | instid1(VALU_DEP_1)
	v_mul_lo_u16 v48, 0x50, v119
	v_and_b32_e32 v48, 0xffff, v48
	s_delay_alu instid0(VALU_DEP_1)
	v_add_co_u32 v120, s14, s10, v48
	s_wait_alu 0xf1ff
	v_add_co_ci_u32_e64 v121, null, s11, 0, s14
	ds_load_b128 v[48:51], v174 offset:24192
	s_clause 0x1
	global_load_b128 v[72:75], v[120:121], off offset:32
	global_load_b128 v[64:67], v[120:121], off offset:64
	s_wait_loadcnt_dscnt 0x100
	v_mul_f64_e32 v[52:53], v[50:51], v[74:75]
	s_delay_alu instid0(VALU_DEP_1) | instskip(SKIP_1) | instid1(VALU_DEP_1)
	v_fma_f64 v[90:91], v[48:49], v[72:73], -v[52:53]
	v_mul_f64_e32 v[48:49], v[48:49], v[74:75]
	v_fma_f64 v[88:89], v[50:51], v[72:73], v[48:49]
	ds_load_b128 v[48:51], v174 offset:38016
	s_wait_loadcnt_dscnt 0x0
	v_mul_f64_e32 v[52:53], v[48:49], v[66:67]
	s_delay_alu instid0(VALU_DEP_1) | instskip(SKIP_2) | instid1(VALU_DEP_1)
	v_fma_f64 v[92:93], v[50:51], v[64:65], v[52:53]
	global_load_b128 v[52:55], v[80:81], off
	v_mul_f64_e32 v[50:51], v[50:51], v[66:67]
	v_fma_f64 v[94:95], v[48:49], v[64:65], -v[50:51]
	ds_load_b128 v[48:51], v174 offset:6912
	s_wait_loadcnt_dscnt 0x0
	v_mul_f64_e32 v[60:61], v[50:51], v[54:55]
	s_delay_alu instid0(VALU_DEP_1)
	v_fma_f64 v[104:105], v[48:49], v[52:53], -v[60:61]
	v_mul_f64_e32 v[48:49], v[48:49], v[54:55]
	ds_load_b128 v[60:63], v174 offset:10368
	v_fma_f64 v[108:109], v[50:51], v[52:53], v[48:49]
	global_load_b128 v[48:51], v[120:121], off
	s_wait_loadcnt_dscnt 0x0
	v_mul_f64_e32 v[76:77], v[62:63], v[50:51]
	s_delay_alu instid0(VALU_DEP_1)
	v_fma_f64 v[106:107], v[60:61], v[48:49], -v[76:77]
	v_mul_f64_e32 v[60:61], v[60:61], v[50:51]
	ds_load_b128 v[76:79], v174 offset:13824
	v_fma_f64 v[110:111], v[62:63], v[48:49], v[60:61]
	global_load_b128 v[60:63], v[80:81], off offset:16
	s_wait_loadcnt_dscnt 0x0
	v_mul_f64_e32 v[82:83], v[78:79], v[62:63]
	s_delay_alu instid0(VALU_DEP_1) | instskip(SKIP_1) | instid1(VALU_DEP_1)
	v_fma_f64 v[136:137], v[76:77], v[60:61], -v[82:83]
	v_mul_f64_e32 v[76:77], v[76:77], v[62:63]
	v_fma_f64 v[138:139], v[78:79], v[60:61], v[76:77]
	ds_load_b128 v[76:79], v174 offset:27648
	s_wait_dscnt 0x0
	v_mul_f64_e32 v[80:81], v[78:79], v[86:87]
	s_delay_alu instid0(VALU_DEP_1)
	v_fma_f64 v[140:141], v[76:77], v[84:85], -v[80:81]
	v_mul_f64_e32 v[76:77], v[76:77], v[86:87]
	ds_load_b128 v[80:83], v174 offset:17280
	v_fma_f64 v[142:143], v[78:79], v[84:85], v[76:77]
	global_load_b128 v[76:79], v[120:121], off offset:16
	s_wait_loadcnt_dscnt 0x0
	v_mul_f64_e32 v[122:123], v[82:83], v[78:79]
	s_delay_alu instid0(VALU_DEP_1) | instskip(SKIP_1) | instid1(VALU_DEP_1)
	v_fma_f64 v[144:145], v[80:81], v[76:77], -v[122:123]
	v_mul_f64_e32 v[80:81], v[80:81], v[78:79]
	v_fma_f64 v[146:147], v[82:83], v[76:77], v[80:81]
	global_load_b128 v[80:83], v[120:121], off offset:48
	ds_load_b128 v[120:123], v174 offset:31104
	s_wait_loadcnt_dscnt 0x0
	v_mul_f64_e32 v[124:125], v[122:123], v[82:83]
	s_delay_alu instid0(VALU_DEP_1) | instskip(SKIP_2) | instid1(VALU_DEP_3)
	v_fma_f64 v[148:149], v[120:121], v[80:81], -v[124:125]
	v_mul_f64_e32 v[120:121], v[120:121], v[82:83]
	v_add_f64_e32 v[124:125], v[136:137], v[140:141]
	v_add_f64_e32 v[132:133], v[144:145], v[148:149]
	s_delay_alu instid0(VALU_DEP_3)
	v_fma_f64 v[150:151], v[122:123], v[80:81], v[120:121]
	ds_load_b128 v[120:123], v174
	s_wait_dscnt 0x0
	v_fma_f64 v[152:153], v[124:125], -0.5, v[120:121]
	v_add_f64_e32 v[124:125], v[138:139], v[142:143]
	v_add_f64_e32 v[120:121], v[120:121], v[136:137]
	v_add_f64_e64 v[136:137], v[136:137], -v[140:141]
	s_delay_alu instid0(VALU_DEP_3) | instskip(NEXT) | instid1(VALU_DEP_3)
	v_fma_f64 v[154:155], v[124:125], -0.5, v[122:123]
	v_add_f64_e32 v[124:125], v[120:121], v[140:141]
	v_add_f64_e32 v[120:121], v[104:105], v[98:99]
	;; [unrolled: 1-line block ×3, first 2 shown]
	v_add_f64_e64 v[138:139], v[138:139], -v[142:143]
	s_delay_alu instid0(VALU_DEP_3) | instskip(SKIP_1) | instid1(VALU_DEP_4)
	v_add_f64_e32 v[128:129], v[120:121], v[102:103]
	v_add_f64_e32 v[120:121], v[108:109], v[96:97]
	;; [unrolled: 1-line block ×3, first 2 shown]
	v_fma_f64 v[142:143], v[136:137], s[12:13], v[154:155]
	v_fma_f64 v[140:141], v[138:139], s[2:3], v[152:153]
	s_delay_alu instid0(VALU_DEP_4) | instskip(SKIP_2) | instid1(VALU_DEP_3)
	v_add_f64_e32 v[130:131], v[120:121], v[100:101]
	v_add_f64_e32 v[120:121], v[124:125], v[128:129]
	v_add_f64_e64 v[124:125], v[124:125], -v[128:129]
	v_add_f64_e32 v[122:123], v[126:127], v[130:131]
	v_add_f64_e64 v[126:127], v[126:127], -v[130:131]
	ds_load_b128 v[128:131], v174 offset:3456
	global_wb scope:SCOPE_SE
	s_wait_dscnt 0x0
	s_barrier_signal -1
	s_barrier_wait -1
	global_inv scope:SCOPE_SE
	v_fma_f64 v[156:157], v[132:133], -0.5, v[128:129]
	v_add_f64_e32 v[132:133], v[146:147], v[150:151]
	v_add_f64_e32 v[128:129], v[128:129], v[144:145]
	v_add_f64_e64 v[144:145], v[144:145], -v[148:149]
	s_delay_alu instid0(VALU_DEP_3) | instskip(NEXT) | instid1(VALU_DEP_3)
	v_fma_f64 v[158:159], v[132:133], -0.5, v[130:131]
	v_add_f64_e32 v[132:133], v[128:129], v[148:149]
	v_add_f64_e32 v[128:129], v[106:107], v[90:91]
	;; [unrolled: 1-line block ×3, first 2 shown]
	v_add_f64_e64 v[146:147], v[146:147], -v[150:151]
	v_fma_f64 v[148:149], v[144:145], s[12:13], v[158:159]
	s_delay_alu instid0(VALU_DEP_4) | instskip(SKIP_2) | instid1(VALU_DEP_2)
	v_add_f64_e32 v[160:161], v[128:129], v[94:95]
	v_add_f64_e32 v[128:129], v[110:111], v[88:89]
	;; [unrolled: 1-line block ×4, first 2 shown]
	s_delay_alu instid0(VALU_DEP_4) | instskip(SKIP_2) | instid1(VALU_DEP_4)
	v_add_f64_e32 v[128:129], v[132:133], v[160:161]
	v_add_f64_e64 v[132:133], v[132:133], -v[160:161]
	v_add_f64_e32 v[160:161], v[98:99], v[102:103]
	v_add_f64_e32 v[130:131], v[134:135], v[162:163]
	v_add_f64_e64 v[134:135], v[134:135], -v[162:163]
	v_add_f64_e64 v[162:163], v[98:99], -v[102:103]
	v_add_f64_e32 v[98:99], v[96:97], v[100:101]
	v_fma_f64 v[104:105], v[160:161], -0.5, v[104:105]
	s_delay_alu instid0(VALU_DEP_2) | instskip(NEXT) | instid1(VALU_DEP_2)
	v_fma_f64 v[108:109], v[98:99], -0.5, v[108:109]
	v_fma_f64 v[98:99], v[164:165], s[2:3], v[104:105]
	v_fma_f64 v[104:105], v[164:165], s[12:13], v[104:105]
	s_delay_alu instid0(VALU_DEP_3) | instskip(SKIP_1) | instid1(VALU_DEP_2)
	v_fma_f64 v[96:97], v[162:163], s[12:13], v[108:109]
	v_fma_f64 v[108:109], v[162:163], s[2:3], v[108:109]
	v_mul_f64_e32 v[100:101], s[2:3], v[96:97]
	s_delay_alu instid0(VALU_DEP_1) | instskip(SKIP_1) | instid1(VALU_DEP_1)
	v_fma_f64 v[100:101], v[98:99], 0.5, v[100:101]
	v_mul_f64_e32 v[98:99], s[12:13], v[98:99]
	v_fma_f64 v[102:103], v[96:97], 0.5, v[98:99]
	s_delay_alu instid0(VALU_DEP_3) | instskip(SKIP_2) | instid1(VALU_DEP_4)
	v_add_f64_e32 v[96:97], v[140:141], v[100:101]
	v_add_f64_e64 v[100:101], v[140:141], -v[100:101]
	v_fma_f64 v[140:141], v[138:139], s[12:13], v[152:153]
	v_add_f64_e32 v[98:99], v[142:143], v[102:103]
	v_add_f64_e64 v[102:103], v[142:143], -v[102:103]
	v_fma_f64 v[142:143], v[136:137], s[2:3], v[154:155]
	v_mul_f64_e32 v[136:137], -0.5, v[104:105]
	s_delay_alu instid0(VALU_DEP_1) | instskip(SKIP_1) | instid1(VALU_DEP_2)
	v_fma_f64 v[152:153], v[108:109], s[2:3], v[136:137]
	v_mul_f64_e32 v[108:109], -0.5, v[108:109]
	v_add_f64_e32 v[136:137], v[140:141], v[152:153]
	s_delay_alu instid0(VALU_DEP_2) | instskip(SKIP_3) | instid1(VALU_DEP_4)
	v_fma_f64 v[104:105], v[104:105], s[12:13], v[108:109]
	v_add_f64_e64 v[108:109], v[90:91], -v[94:95]
	v_add_f64_e64 v[140:141], v[140:141], -v[152:153]
	;; [unrolled: 1-line block ×3, first 2 shown]
	v_add_f64_e32 v[138:139], v[142:143], v[104:105]
	v_add_f64_e64 v[142:143], v[142:143], -v[104:105]
	v_add_f64_e32 v[104:105], v[90:91], v[94:95]
	v_add_f64_e32 v[90:91], v[88:89], v[92:93]
	ds_store_b128 v178, v[120:123]
	ds_store_b128 v178, v[124:127] offset:288
	ds_store_b128 v178, v[96:99] offset:96
	;; [unrolled: 1-line block ×5, first 2 shown]
	v_mad_u16 v96, v118, 36, v119
	v_fma_f64 v[104:105], v[104:105], -0.5, v[106:107]
	v_fma_f64 v[110:111], v[90:91], -0.5, v[110:111]
	v_fma_f64 v[106:107], v[146:147], s[2:3], v[156:157]
	s_delay_alu instid0(VALU_DEP_4) | instskip(NEXT) | instid1(VALU_DEP_1)
	v_and_b32_e32 v96, 0xffff, v96
	v_lshlrev_b32_e32 v177, 4, v96
	v_fma_f64 v[90:91], v[152:153], s[2:3], v[104:105]
	v_fma_f64 v[88:89], v[108:109], s[12:13], v[110:111]
	;; [unrolled: 1-line block ×3, first 2 shown]
	s_delay_alu instid0(VALU_DEP_2) | instskip(NEXT) | instid1(VALU_DEP_1)
	v_mul_f64_e32 v[92:93], s[2:3], v[88:89]
	v_fma_f64 v[92:93], v[90:91], 0.5, v[92:93]
	v_mul_f64_e32 v[90:91], s[12:13], v[90:91]
	s_delay_alu instid0(VALU_DEP_1) | instskip(NEXT) | instid1(VALU_DEP_3)
	v_fma_f64 v[94:95], v[88:89], 0.5, v[90:91]
	v_add_f64_e32 v[88:89], v[106:107], v[92:93]
	v_add_f64_e64 v[92:93], v[106:107], -v[92:93]
	v_fma_f64 v[106:107], v[108:109], s[2:3], v[110:111]
	v_fma_f64 v[110:111], v[144:145], s[2:3], v[158:159]
	v_mul_f64_e32 v[144:145], -0.5, v[104:105]
	v_fma_f64 v[108:109], v[146:147], s[12:13], v[156:157]
	v_add_f64_e32 v[90:91], v[148:149], v[94:95]
	v_add_f64_e64 v[94:95], v[148:149], -v[94:95]
	s_delay_alu instid0(VALU_DEP_4) | instskip(SKIP_1) | instid1(VALU_DEP_1)
	v_fma_f64 v[144:145], v[106:107], s[2:3], v[144:145]
	v_mul_f64_e32 v[106:107], -0.5, v[106:107]
	v_fma_f64 v[146:147], v[104:105], s[12:13], v[106:107]
	s_delay_alu instid0(VALU_DEP_3) | instskip(SKIP_1) | instid1(VALU_DEP_3)
	v_add_f64_e32 v[104:105], v[108:109], v[144:145]
	v_add_f64_e64 v[108:109], v[108:109], -v[144:145]
	v_add_f64_e32 v[106:107], v[110:111], v[146:147]
	v_add_f64_e64 v[110:111], v[110:111], -v[146:147]
	ds_store_b128 v177, v[128:131]
	ds_store_b128 v177, v[88:91] offset:96
	ds_store_b128 v177, v[104:107] offset:192
	;; [unrolled: 1-line block ×5, first 2 shown]
	v_mul_lo_u16 v88, v114, 57
	global_wb scope:SCOPE_SE
	s_wait_dscnt 0x0
	s_barrier_signal -1
	s_barrier_wait -1
	global_inv scope:SCOPE_SE
	v_lshrrev_b16 v209, 11, v88
	s_delay_alu instid0(VALU_DEP_1) | instskip(NEXT) | instid1(VALU_DEP_1)
	v_mul_lo_u16 v88, v209, 36
	v_sub_nc_u16 v88, v112, v88
	s_delay_alu instid0(VALU_DEP_1)
	v_and_b32_e32 v100, 0xff, v88
	ds_load_b128 v[88:91], v174 offset:20736
	v_mad_co_u64_u32 v[124:125], null, 0x50, v100, s[10:11]
	s_clause 0x2
	global_load_b128 v[96:99], v[124:125], off offset:512
	global_load_b128 v[120:123], v[124:125], off offset:544
	;; [unrolled: 1-line block ×3, first 2 shown]
	s_wait_loadcnt_dscnt 0x200
	v_mul_f64_e32 v[92:93], v[90:91], v[98:99]
	s_delay_alu instid0(VALU_DEP_1) | instskip(SKIP_1) | instid1(VALU_DEP_1)
	v_fma_f64 v[148:149], v[88:89], v[96:97], -v[92:93]
	v_mul_f64_e32 v[88:89], v[88:89], v[98:99]
	v_fma_f64 v[150:151], v[90:91], v[96:97], v[88:89]
	ds_load_b128 v[88:91], v174 offset:34560
	s_wait_loadcnt_dscnt 0x100
	v_mul_f64_e32 v[92:93], v[88:89], v[122:123]
	s_delay_alu instid0(VALU_DEP_1) | instskip(SKIP_1) | instid1(VALU_DEP_2)
	v_fma_f64 v[152:153], v[90:91], v[120:121], v[92:93]
	v_mul_f64_e32 v[90:91], v[90:91], v[122:123]
	v_add_f64_e64 v[207:208], v[150:151], -v[152:153]
	s_delay_alu instid0(VALU_DEP_2) | instskip(SKIP_1) | instid1(VALU_DEP_1)
	v_fma_f64 v[154:155], v[88:89], v[120:121], -v[90:91]
	v_mul_u32_u24_e32 v88, 0xe38f, v115
	v_lshrrev_b32_e32 v101, 21, v88
	s_delay_alu instid0(VALU_DEP_1) | instskip(NEXT) | instid1(VALU_DEP_1)
	v_mul_lo_u16 v88, v101, 36
	v_sub_nc_u16 v102, v113, v88
	s_delay_alu instid0(VALU_DEP_1) | instskip(NEXT) | instid1(VALU_DEP_1)
	v_mul_lo_u16 v88, 0x50, v102
	v_and_b32_e32 v88, 0xffff, v88
	s_delay_alu instid0(VALU_DEP_1)
	v_add_co_u32 v128, s14, s10, v88
	s_wait_alu 0xf1ff
	v_add_co_ci_u32_e64 v129, null, s11, 0, s14
	ds_load_b128 v[88:91], v174 offset:24192
	s_clause 0x1
	global_load_b128 v[112:115], v[128:129], off offset:512
	global_load_b128 v[116:119], v[128:129], off offset:544
	s_wait_loadcnt_dscnt 0x100
	v_mul_f64_e32 v[92:93], v[90:91], v[114:115]
	s_delay_alu instid0(VALU_DEP_1) | instskip(SKIP_1) | instid1(VALU_DEP_1)
	v_fma_f64 v[164:165], v[88:89], v[112:113], -v[92:93]
	v_mul_f64_e32 v[88:89], v[88:89], v[114:115]
	v_fma_f64 v[166:167], v[90:91], v[112:113], v[88:89]
	ds_load_b128 v[88:91], v174 offset:38016
	s_wait_loadcnt_dscnt 0x0
	v_mul_f64_e32 v[92:93], v[88:89], v[118:119]
	s_delay_alu instid0(VALU_DEP_1) | instskip(SKIP_2) | instid1(VALU_DEP_1)
	v_fma_f64 v[168:169], v[90:91], v[116:117], v[92:93]
	global_load_b128 v[92:95], v[124:125], off offset:480
	v_mul_f64_e32 v[90:91], v[90:91], v[118:119]
	v_fma_f64 v[170:171], v[88:89], v[116:117], -v[90:91]
	ds_load_b128 v[88:91], v174 offset:6912
	s_wait_loadcnt_dscnt 0x0
	v_mul_f64_e32 v[103:104], v[90:91], v[94:95]
	s_delay_alu instid0(VALU_DEP_1)
	v_fma_f64 v[156:157], v[88:89], v[92:93], -v[103:104]
	v_mul_f64_e32 v[88:89], v[88:89], v[94:95]
	ds_load_b128 v[103:106], v174 offset:10368
	v_fma_f64 v[158:159], v[90:91], v[92:93], v[88:89]
	global_load_b128 v[88:91], v[128:129], off offset:480
	s_wait_loadcnt_dscnt 0x0
	v_mul_f64_e32 v[107:108], v[105:106], v[90:91]
	s_delay_alu instid0(VALU_DEP_1)
	v_fma_f64 v[179:180], v[103:104], v[88:89], -v[107:108]
	v_mul_f64_e32 v[103:104], v[103:104], v[90:91]
	ds_load_b128 v[108:111], v174 offset:13824
	v_fma_f64 v[181:182], v[105:106], v[88:89], v[103:104]
	global_load_b128 v[104:107], v[124:125], off offset:496
	v_and_b32_e32 v103, 0xffff, v209
	s_delay_alu instid0(VALU_DEP_1) | instskip(SKIP_2) | instid1(VALU_DEP_1)
	v_mul_u32_u24_e32 v103, 0xd8, v103
	s_wait_loadcnt_dscnt 0x0
	v_mul_f64_e32 v[126:127], v[110:111], v[106:107]
	v_fma_f64 v[160:161], v[108:109], v[104:105], -v[126:127]
	v_mul_f64_e32 v[108:109], v[108:109], v[106:107]
	s_delay_alu instid0(VALU_DEP_1) | instskip(SKIP_3) | instid1(VALU_DEP_1)
	v_fma_f64 v[162:163], v[110:111], v[104:105], v[108:109]
	ds_load_b128 v[108:111], v174 offset:27648
	s_wait_dscnt 0x0
	v_mul_f64_e32 v[124:125], v[110:111], v[134:135]
	v_fma_f64 v[183:184], v[108:109], v[132:133], -v[124:125]
	global_load_b128 v[124:127], v[128:129], off offset:496
	v_mul_f64_e32 v[108:109], v[108:109], v[134:135]
	s_delay_alu instid0(VALU_DEP_1) | instskip(SKIP_3) | instid1(VALU_DEP_1)
	v_fma_f64 v[185:186], v[110:111], v[132:133], v[108:109]
	ds_load_b128 v[108:111], v174 offset:17280
	s_wait_loadcnt_dscnt 0x0
	v_mul_f64_e32 v[130:131], v[110:111], v[126:127]
	v_fma_f64 v[187:188], v[108:109], v[124:125], -v[130:131]
	global_load_b128 v[128:131], v[128:129], off offset:528
	v_mul_f64_e32 v[108:109], v[108:109], v[126:127]
	s_delay_alu instid0(VALU_DEP_1) | instskip(SKIP_3) | instid1(VALU_DEP_1)
	v_fma_f64 v[189:190], v[110:111], v[124:125], v[108:109]
	ds_load_b128 v[108:111], v174 offset:31104
	s_wait_loadcnt_dscnt 0x0
	v_mul_f64_e32 v[136:137], v[110:111], v[130:131]
	v_fma_f64 v[191:192], v[108:109], v[128:129], -v[136:137]
	v_mul_f64_e32 v[108:109], v[108:109], v[130:131]
	v_add_f64_e32 v[136:137], v[160:161], v[183:184]
	s_delay_alu instid0(VALU_DEP_3) | instskip(NEXT) | instid1(VALU_DEP_3)
	v_add_f64_e32 v[144:145], v[187:188], v[191:192]
	v_fma_f64 v[193:194], v[110:111], v[128:129], v[108:109]
	ds_load_b128 v[108:111], v174
	s_wait_dscnt 0x0
	v_fma_f64 v[195:196], v[136:137], -0.5, v[108:109]
	v_add_f64_e32 v[136:137], v[162:163], v[185:186]
	v_add_f64_e32 v[108:109], v[108:109], v[160:161]
	v_add_f64_e64 v[160:161], v[160:161], -v[183:184]
	s_delay_alu instid0(VALU_DEP_3) | instskip(NEXT) | instid1(VALU_DEP_3)
	v_fma_f64 v[197:198], v[136:137], -0.5, v[110:111]
	v_add_f64_e32 v[136:137], v[108:109], v[183:184]
	v_add_f64_e32 v[108:109], v[156:157], v[148:149]
	;; [unrolled: 1-line block ×3, first 2 shown]
	v_add_f64_e64 v[162:163], v[162:163], -v[185:186]
	s_delay_alu instid0(VALU_DEP_3) | instskip(SKIP_1) | instid1(VALU_DEP_4)
	v_add_f64_e32 v[140:141], v[108:109], v[154:155]
	v_add_f64_e32 v[108:109], v[158:159], v[150:151]
	;; [unrolled: 1-line block ×3, first 2 shown]
	s_delay_alu instid0(VALU_DEP_4)
	v_fma_f64 v[183:184], v[162:163], s[2:3], v[195:196]
	v_fma_f64 v[185:186], v[160:161], s[12:13], v[197:198]
	v_fma_f64 v[162:163], v[162:163], s[12:13], v[195:196]
	v_add_f64_e64 v[195:196], v[166:167], -v[168:169]
	v_add_f64_e32 v[142:143], v[108:109], v[152:153]
	v_add_f64_e32 v[108:109], v[136:137], v[140:141]
	v_add_f64_e64 v[136:137], v[136:137], -v[140:141]
	s_delay_alu instid0(VALU_DEP_3)
	v_add_f64_e32 v[110:111], v[138:139], v[142:143]
	v_add_f64_e64 v[138:139], v[138:139], -v[142:143]
	ds_load_b128 v[140:143], v174 offset:3456
	global_wb scope:SCOPE_SE
	s_wait_dscnt 0x0
	s_barrier_signal -1
	s_barrier_wait -1
	global_inv scope:SCOPE_SE
	v_fma_f64 v[199:200], v[144:145], -0.5, v[140:141]
	v_add_f64_e32 v[144:145], v[189:190], v[193:194]
	v_add_f64_e32 v[140:141], v[140:141], v[187:188]
	v_add_f64_e64 v[187:188], v[187:188], -v[191:192]
	s_delay_alu instid0(VALU_DEP_3) | instskip(NEXT) | instid1(VALU_DEP_3)
	v_fma_f64 v[201:202], v[144:145], -0.5, v[142:143]
	v_add_f64_e32 v[144:145], v[140:141], v[191:192]
	v_add_f64_e32 v[140:141], v[179:180], v[164:165]
	;; [unrolled: 1-line block ×3, first 2 shown]
	v_add_f64_e64 v[189:190], v[189:190], -v[193:194]
	v_fma_f64 v[191:192], v[187:188], s[12:13], v[201:202]
	v_fma_f64 v[187:188], v[187:188], s[2:3], v[201:202]
	v_add_f64_e32 v[203:204], v[140:141], v[170:171]
	v_add_f64_e32 v[140:141], v[181:182], v[166:167]
	;; [unrolled: 1-line block ×3, first 2 shown]
	s_delay_alu instid0(VALU_DEP_2) | instskip(NEXT) | instid1(VALU_DEP_4)
	v_add_f64_e32 v[205:206], v[140:141], v[168:169]
	v_add_f64_e32 v[140:141], v[144:145], v[203:204]
	v_add_f64_e64 v[144:145], v[144:145], -v[203:204]
	v_add_f64_e32 v[203:204], v[148:149], v[154:155]
	s_delay_alu instid0(VALU_DEP_4) | instskip(SKIP_4) | instid1(VALU_DEP_2)
	v_add_f64_e32 v[142:143], v[146:147], v[205:206]
	v_add_f64_e64 v[146:147], v[146:147], -v[205:206]
	v_add_f64_e64 v[205:206], v[148:149], -v[154:155]
	v_add_f64_e32 v[148:149], v[150:151], v[152:153]
	v_fma_f64 v[156:157], v[203:204], -0.5, v[156:157]
	v_fma_f64 v[158:159], v[148:149], -0.5, v[158:159]
	s_delay_alu instid0(VALU_DEP_2) | instskip(SKIP_1) | instid1(VALU_DEP_3)
	v_fma_f64 v[150:151], v[207:208], s[2:3], v[156:157]
	v_fma_f64 v[156:157], v[207:208], s[12:13], v[156:157]
	;; [unrolled: 1-line block ×4, first 2 shown]
	s_delay_alu instid0(VALU_DEP_2) | instskip(NEXT) | instid1(VALU_DEP_1)
	v_mul_f64_e32 v[152:153], s[2:3], v[148:149]
	v_fma_f64 v[152:153], v[150:151], 0.5, v[152:153]
	v_mul_f64_e32 v[150:151], s[12:13], v[150:151]
	s_delay_alu instid0(VALU_DEP_1) | instskip(NEXT) | instid1(VALU_DEP_3)
	v_fma_f64 v[154:155], v[148:149], 0.5, v[150:151]
	v_add_f64_e32 v[148:149], v[183:184], v[152:153]
	v_add_f64_e64 v[152:153], v[183:184], -v[152:153]
	v_fma_f64 v[183:184], v[160:161], s[2:3], v[197:198]
	v_mul_f64_e32 v[160:161], -0.5, v[156:157]
	v_add_f64_e32 v[150:151], v[185:186], v[154:155]
	v_add_f64_e64 v[154:155], v[185:186], -v[154:155]
	s_delay_alu instid0(VALU_DEP_3) | instskip(SKIP_1) | instid1(VALU_DEP_1)
	v_fma_f64 v[160:161], v[158:159], s[2:3], v[160:161]
	v_mul_f64_e32 v[158:159], -0.5, v[158:159]
	v_fma_f64 v[185:186], v[156:157], s[12:13], v[158:159]
	s_delay_alu instid0(VALU_DEP_3) | instskip(SKIP_1) | instid1(VALU_DEP_3)
	v_add_f64_e32 v[156:157], v[162:163], v[160:161]
	v_add_f64_e64 v[160:161], v[162:163], -v[160:161]
	v_add_f64_e32 v[158:159], v[183:184], v[185:186]
	v_add_f64_e64 v[162:163], v[183:184], -v[185:186]
	;; [unrolled: 2-line block ×3, first 2 shown]
	v_add_f64_e32 v[164:165], v[166:167], v[168:169]
	s_delay_alu instid0(VALU_DEP_3) | instskip(SKIP_1) | instid1(VALU_DEP_3)
	v_fma_f64 v[179:180], v[183:184], -0.5, v[179:180]
	v_fma_f64 v[183:184], v[189:190], s[2:3], v[199:200]
	v_fma_f64 v[181:182], v[164:165], -0.5, v[181:182]
	s_delay_alu instid0(VALU_DEP_3) | instskip(SKIP_1) | instid1(VALU_DEP_3)
	v_fma_f64 v[166:167], v[195:196], s[2:3], v[179:180]
	v_fma_f64 v[179:180], v[195:196], s[12:13], v[179:180]
	;; [unrolled: 1-line block ×5, first 2 shown]
	s_delay_alu instid0(VALU_DEP_3) | instskip(NEXT) | instid1(VALU_DEP_1)
	v_mul_f64_e32 v[168:169], s[2:3], v[164:165]
	v_fma_f64 v[168:169], v[166:167], 0.5, v[168:169]
	v_mul_f64_e32 v[166:167], s[12:13], v[166:167]
	s_delay_alu instid0(VALU_DEP_1) | instskip(NEXT) | instid1(VALU_DEP_3)
	v_fma_f64 v[170:171], v[164:165], 0.5, v[166:167]
	v_add_f64_e32 v[164:165], v[183:184], v[168:169]
	v_add_f64_e64 v[168:169], v[183:184], -v[168:169]
	v_mul_f64_e32 v[183:184], -0.5, v[179:180]
	s_delay_alu instid0(VALU_DEP_4) | instskip(SKIP_1) | instid1(VALU_DEP_3)
	v_add_f64_e32 v[166:167], v[191:192], v[170:171]
	v_add_f64_e64 v[170:171], v[191:192], -v[170:171]
	v_fma_f64 v[189:190], v[181:182], s[2:3], v[183:184]
	v_mul_f64_e32 v[181:182], -0.5, v[181:182]
	s_delay_alu instid0(VALU_DEP_1) | instskip(NEXT) | instid1(VALU_DEP_3)
	v_fma_f64 v[179:180], v[179:180], s[12:13], v[181:182]
	v_add_f64_e32 v[181:182], v[185:186], v[189:190]
	v_add_f64_e64 v[185:186], v[185:186], -v[189:190]
	s_delay_alu instid0(VALU_DEP_3)
	v_add_f64_e32 v[183:184], v[187:188], v[179:180]
	v_add_f64_e64 v[187:188], v[187:188], -v[179:180]
	v_add_lshl_u32 v180, v103, v100, 4
	v_mad_u16 v100, 0xd8, v101, v102
	ds_store_b128 v180, v[108:111]
	ds_store_b128 v180, v[136:139] offset:1728
	ds_store_b128 v180, v[148:151] offset:576
	;; [unrolled: 1-line block ×5, first 2 shown]
	v_and_b32_e32 v100, 0xffff, v100
	v_mad_co_u64_u32 v[148:149], null, 0x50, v173, s[10:11]
	s_delay_alu instid0(VALU_DEP_2)
	v_lshlrev_b32_e32 v179, 4, v100
	ds_store_b128 v179, v[140:143]
	ds_store_b128 v179, v[164:167] offset:576
	ds_store_b128 v179, v[181:184] offset:1152
	;; [unrolled: 1-line block ×5, first 2 shown]
	global_wb scope:SCOPE_SE
	s_wait_dscnt 0x0
	s_barrier_signal -1
	s_barrier_wait -1
	global_inv scope:SCOPE_SE
	global_load_b128 v[108:111], v[148:149], off offset:3392
	ds_load_b128 v[100:103], v174 offset:20736
	s_wait_loadcnt_dscnt 0x0
	v_mul_f64_e32 v[136:137], v[102:103], v[110:111]
	s_delay_alu instid0(VALU_DEP_1) | instskip(SKIP_2) | instid1(VALU_DEP_1)
	v_fma_f64 v[166:167], v[100:101], v[108:109], -v[136:137]
	global_load_b128 v[136:139], v[148:149], off offset:3424
	v_mul_f64_e32 v[100:101], v[100:101], v[110:111]
	v_fma_f64 v[168:169], v[102:103], v[108:109], v[100:101]
	ds_load_b128 v[100:103], v174 offset:34560
	s_wait_loadcnt_dscnt 0x0
	v_mul_f64_e32 v[140:141], v[102:103], v[138:139]
	s_delay_alu instid0(VALU_DEP_1) | instskip(SKIP_1) | instid1(VALU_DEP_1)
	v_fma_f64 v[170:171], v[100:101], v[136:137], -v[140:141]
	v_mul_f64_e32 v[100:101], v[100:101], v[138:139]
	v_fma_f64 v[181:182], v[102:103], v[136:137], v[100:101]
	ds_load_b128 v[100:103], v174 offset:24192
	s_wait_dscnt 0x0
	v_mul_f64_e32 v[140:141], v[102:103], v[110:111]
	s_delay_alu instid0(VALU_DEP_1) | instskip(SKIP_1) | instid1(VALU_DEP_1)
	v_fma_f64 v[193:194], v[100:101], v[108:109], -v[140:141]
	v_mul_f64_e32 v[100:101], v[100:101], v[110:111]
	v_fma_f64 v[195:196], v[102:103], v[108:109], v[100:101]
	ds_load_b128 v[100:103], v174 offset:38016
	s_wait_dscnt 0x0
	v_mul_f64_e32 v[140:141], v[102:103], v[138:139]
	s_delay_alu instid0(VALU_DEP_1)
	v_fma_f64 v[197:198], v[100:101], v[136:137], -v[140:141]
	v_mul_f64_e32 v[100:101], v[100:101], v[138:139]
	ds_load_b128 v[140:143], v174 offset:6912
	v_fma_f64 v[199:200], v[102:103], v[136:137], v[100:101]
	global_load_b128 v[100:103], v[148:149], off offset:3360
	s_wait_loadcnt_dscnt 0x0
	v_mul_f64_e32 v[144:145], v[142:143], v[102:103]
	s_delay_alu instid0(VALU_DEP_1) | instskip(SKIP_1) | instid1(VALU_DEP_1)
	v_fma_f64 v[183:184], v[140:141], v[100:101], -v[144:145]
	v_mul_f64_e32 v[140:141], v[140:141], v[102:103]
	v_fma_f64 v[185:186], v[142:143], v[100:101], v[140:141]
	ds_load_b128 v[140:143], v174 offset:10368
	s_wait_dscnt 0x0
	v_mul_f64_e32 v[144:145], v[142:143], v[102:103]
	s_delay_alu instid0(VALU_DEP_1)
	v_fma_f64 v[201:202], v[140:141], v[100:101], -v[144:145]
	v_mul_f64_e32 v[140:141], v[140:141], v[102:103]
	ds_load_b128 v[144:147], v174 offset:13824
	v_fma_f64 v[203:204], v[142:143], v[100:101], v[140:141]
	global_load_b128 v[140:143], v[148:149], off offset:3376
	s_wait_loadcnt_dscnt 0x0
	v_mul_f64_e32 v[150:151], v[146:147], v[142:143]
	s_delay_alu instid0(VALU_DEP_1)
	v_fma_f64 v[187:188], v[144:145], v[140:141], -v[150:151]
	v_mul_f64_e32 v[144:145], v[144:145], v[142:143]
	ds_load_b128 v[150:153], v174 offset:27648
	v_fma_f64 v[189:190], v[146:147], v[140:141], v[144:145]
	global_load_b128 v[144:147], v[148:149], off offset:3408
	s_wait_loadcnt_dscnt 0x0
	v_mul_f64_e32 v[154:155], v[152:153], v[146:147]
	s_delay_alu instid0(VALU_DEP_1) | instskip(SKIP_1) | instid1(VALU_DEP_1)
	v_fma_f64 v[191:192], v[150:151], v[144:145], -v[154:155]
	v_mul_f64_e32 v[150:151], v[150:151], v[146:147]
	v_fma_f64 v[205:206], v[152:153], v[144:145], v[150:151]
	ds_load_b128 v[150:153], v174 offset:17280
	s_wait_dscnt 0x0
	v_mul_f64_e32 v[154:155], v[152:153], v[142:143]
	s_delay_alu instid0(VALU_DEP_1) | instskip(SKIP_1) | instid1(VALU_DEP_1)
	v_fma_f64 v[207:208], v[150:151], v[140:141], -v[154:155]
	v_mul_f64_e32 v[150:151], v[150:151], v[142:143]
	v_fma_f64 v[209:210], v[152:153], v[140:141], v[150:151]
	ds_load_b128 v[150:153], v174 offset:31104
	s_wait_dscnt 0x0
	v_mul_f64_e32 v[154:155], v[152:153], v[146:147]
	s_delay_alu instid0(VALU_DEP_1) | instskip(SKIP_2) | instid1(VALU_DEP_3)
	v_fma_f64 v[211:212], v[150:151], v[144:145], -v[154:155]
	v_mul_f64_e32 v[150:151], v[150:151], v[146:147]
	v_add_f64_e32 v[154:155], v[187:188], v[191:192]
	v_add_f64_e32 v[162:163], v[207:208], v[211:212]
	s_delay_alu instid0(VALU_DEP_3)
	v_fma_f64 v[213:214], v[152:153], v[144:145], v[150:151]
	ds_load_b128 v[150:153], v174
	s_wait_dscnt 0x0
	v_fma_f64 v[215:216], v[154:155], -0.5, v[150:151]
	v_add_f64_e32 v[154:155], v[189:190], v[205:206]
	v_add_f64_e32 v[150:151], v[150:151], v[187:188]
	v_add_f64_e64 v[187:188], v[187:188], -v[191:192]
	s_delay_alu instid0(VALU_DEP_3) | instskip(NEXT) | instid1(VALU_DEP_3)
	v_fma_f64 v[217:218], v[154:155], -0.5, v[152:153]
	v_add_f64_e32 v[154:155], v[150:151], v[191:192]
	v_add_f64_e32 v[150:151], v[183:184], v[166:167]
	;; [unrolled: 1-line block ×3, first 2 shown]
	v_add_f64_e64 v[189:190], v[189:190], -v[205:206]
	s_delay_alu instid0(VALU_DEP_3) | instskip(SKIP_1) | instid1(VALU_DEP_4)
	v_add_f64_e32 v[158:159], v[150:151], v[170:171]
	v_add_f64_e32 v[150:151], v[185:186], v[168:169]
	;; [unrolled: 1-line block ×3, first 2 shown]
	s_delay_alu instid0(VALU_DEP_4) | instskip(SKIP_1) | instid1(VALU_DEP_4)
	v_fma_f64 v[205:206], v[189:190], s[2:3], v[215:216]
	v_fma_f64 v[189:190], v[189:190], s[12:13], v[215:216]
	v_add_f64_e32 v[160:161], v[150:151], v[181:182]
	v_add_f64_e32 v[150:151], v[154:155], v[158:159]
	v_add_f64_e64 v[154:155], v[154:155], -v[158:159]
	s_delay_alu instid0(VALU_DEP_3)
	v_add_f64_e32 v[152:153], v[156:157], v[160:161]
	v_add_f64_e64 v[156:157], v[156:157], -v[160:161]
	ds_load_b128 v[158:161], v174 offset:3456
	global_wb scope:SCOPE_SE
	s_wait_dscnt 0x0
	s_barrier_signal -1
	s_barrier_wait -1
	global_inv scope:SCOPE_SE
	v_fma_f64 v[219:220], v[162:163], -0.5, v[158:159]
	v_add_f64_e32 v[162:163], v[209:210], v[213:214]
	v_add_f64_e32 v[158:159], v[158:159], v[207:208]
	v_add_f64_e64 v[207:208], v[207:208], -v[211:212]
	s_delay_alu instid0(VALU_DEP_3) | instskip(NEXT) | instid1(VALU_DEP_3)
	v_fma_f64 v[221:222], v[162:163], -0.5, v[160:161]
	v_add_f64_e32 v[162:163], v[158:159], v[211:212]
	v_add_f64_e32 v[158:159], v[201:202], v[193:194]
	;; [unrolled: 1-line block ×3, first 2 shown]
	v_add_f64_e64 v[209:210], v[209:210], -v[213:214]
	v_fma_f64 v[211:212], v[207:208], s[12:13], v[221:222]
	v_fma_f64 v[207:208], v[207:208], s[2:3], v[221:222]
	v_add_f64_e32 v[223:224], v[158:159], v[197:198]
	v_add_f64_e32 v[158:159], v[203:204], v[195:196]
	;; [unrolled: 1-line block ×3, first 2 shown]
	s_delay_alu instid0(VALU_DEP_2) | instskip(NEXT) | instid1(VALU_DEP_4)
	v_add_f64_e32 v[225:226], v[158:159], v[199:200]
	v_add_f64_e32 v[158:159], v[162:163], v[223:224]
	v_add_f64_e64 v[162:163], v[162:163], -v[223:224]
	v_add_f64_e32 v[223:224], v[166:167], v[170:171]
	v_add_f64_e64 v[170:171], v[166:167], -v[170:171]
	v_add_f64_e32 v[166:167], v[168:169], v[181:182]
	v_add_f64_e32 v[160:161], v[164:165], v[225:226]
	v_add_f64_e64 v[164:165], v[164:165], -v[225:226]
	v_add_f64_e64 v[225:226], v[168:169], -v[181:182]
	v_fma_f64 v[191:192], v[223:224], -0.5, v[183:184]
	v_fma_f64 v[223:224], v[187:188], s[12:13], v[217:218]
	v_fma_f64 v[185:186], v[166:167], -0.5, v[185:186]
	s_delay_alu instid0(VALU_DEP_3) | instskip(SKIP_1) | instid1(VALU_DEP_3)
	v_fma_f64 v[168:169], v[225:226], s[2:3], v[191:192]
	v_fma_f64 v[191:192], v[225:226], s[12:13], v[191:192]
	;; [unrolled: 1-line block ×4, first 2 shown]
	s_delay_alu instid0(VALU_DEP_3) | instskip(NEXT) | instid1(VALU_DEP_3)
	v_mul_f64_e32 v[185:186], -0.5, v[191:192]
	v_mul_f64_e32 v[181:182], s[2:3], v[166:167]
	s_delay_alu instid0(VALU_DEP_2) | instskip(NEXT) | instid1(VALU_DEP_2)
	v_fma_f64 v[215:216], v[170:171], s[2:3], v[185:186]
	v_fma_f64 v[181:182], v[168:169], 0.5, v[181:182]
	v_mul_f64_e32 v[168:169], s[12:13], v[168:169]
	v_mul_f64_e32 v[170:171], -0.5, v[170:171]
	s_delay_alu instid0(VALU_DEP_4) | instskip(SKIP_1) | instid1(VALU_DEP_4)
	v_add_f64_e32 v[185:186], v[189:190], v[215:216]
	v_add_f64_e64 v[189:190], v[189:190], -v[215:216]
	v_fma_f64 v[183:184], v[166:167], 0.5, v[168:169]
	v_add_f64_e32 v[166:167], v[205:206], v[181:182]
	v_add_f64_e64 v[181:182], v[205:206], -v[181:182]
	v_fma_f64 v[205:206], v[187:188], s[2:3], v[217:218]
	v_fma_f64 v[170:171], v[191:192], s[12:13], v[170:171]
	v_add_f64_e64 v[215:216], v[195:196], -v[199:200]
	v_add_f64_e32 v[168:169], v[223:224], v[183:184]
	v_add_f64_e64 v[183:184], v[223:224], -v[183:184]
	s_delay_alu instid0(VALU_DEP_4) | instskip(SKIP_4) | instid1(VALU_DEP_3)
	v_add_f64_e32 v[187:188], v[205:206], v[170:171]
	v_add_f64_e64 v[191:192], v[205:206], -v[170:171]
	v_add_f64_e32 v[170:171], v[193:194], v[197:198]
	v_add_f64_e64 v[205:206], v[193:194], -v[197:198]
	v_add_f64_e32 v[193:194], v[195:196], v[199:200]
	v_fma_f64 v[170:171], v[170:171], -0.5, v[201:202]
	v_fma_f64 v[201:202], v[209:210], s[2:3], v[219:220]
	s_delay_alu instid0(VALU_DEP_3) | instskip(NEXT) | instid1(VALU_DEP_3)
	v_fma_f64 v[203:204], v[193:194], -0.5, v[203:204]
	v_fma_f64 v[195:196], v[215:216], s[2:3], v[170:171]
	v_fma_f64 v[170:171], v[215:216], s[12:13], v[170:171]
	s_delay_alu instid0(VALU_DEP_3) | instskip(NEXT) | instid1(VALU_DEP_1)
	v_fma_f64 v[193:194], v[205:206], s[12:13], v[203:204]
	v_mul_f64_e32 v[197:198], s[2:3], v[193:194]
	s_delay_alu instid0(VALU_DEP_1) | instskip(SKIP_1) | instid1(VALU_DEP_1)
	v_fma_f64 v[197:198], v[195:196], 0.5, v[197:198]
	v_mul_f64_e32 v[195:196], s[12:13], v[195:196]
	v_fma_f64 v[199:200], v[193:194], 0.5, v[195:196]
	s_delay_alu instid0(VALU_DEP_3)
	v_add_f64_e32 v[193:194], v[201:202], v[197:198]
	v_add_f64_e64 v[197:198], v[201:202], -v[197:198]
	v_fma_f64 v[201:202], v[205:206], s[2:3], v[203:204]
	v_mul_f64_e32 v[203:204], -0.5, v[170:171]
	v_fma_f64 v[205:206], v[209:210], s[12:13], v[219:220]
	v_add_f64_e32 v[195:196], v[211:212], v[199:200]
	v_add_f64_e64 v[199:200], v[211:212], -v[199:200]
	s_delay_alu instid0(VALU_DEP_4) | instskip(SKIP_1) | instid1(VALU_DEP_1)
	v_fma_f64 v[209:210], v[201:202], s[2:3], v[203:204]
	v_mul_f64_e32 v[201:202], -0.5, v[201:202]
	v_fma_f64 v[170:171], v[170:171], s[12:13], v[201:202]
	s_delay_alu instid0(VALU_DEP_3) | instskip(SKIP_1) | instid1(VALU_DEP_3)
	v_add_f64_e32 v[201:202], v[205:206], v[209:210]
	v_add_f64_e64 v[205:206], v[205:206], -v[209:210]
	v_add_f64_e32 v[203:204], v[207:208], v[170:171]
	v_add_f64_e64 v[207:208], v[207:208], -v[170:171]
	ds_store_b128 v174, v[150:153]
	ds_store_b128 v174, v[154:157] offset:10368
	ds_store_b128 v174, v[158:161] offset:20736
	;; [unrolled: 1-line block ×11, first 2 shown]
	v_lshlrev_b32_e32 v150, 6, v173
	global_wb scope:SCOPE_SE
	s_wait_dscnt 0x0
	s_barrier_signal -1
	s_barrier_wait -1
	global_inv scope:SCOPE_SE
	v_sub_co_u32 v181, vcc_lo, v148, v150
	s_wait_alu 0xfffd
	v_subrev_co_ci_u32_e32 v182, vcc_lo, 0, v149, vcc_lo
	ds_load_b128 v[152:155], v174 offset:20736
	ds_load_b128 v[213:216], v174 offset:13824
	;; [unrolled: 1-line block ×3, first 2 shown]
	global_load_b128 v[148:151], v[181:182], off offset:20640
	ds_load_b128 v[197:200], v174 offset:6912
	ds_load_b128 v[205:208], v174 offset:10368
	s_wait_loadcnt_dscnt 0x4
	v_mul_f64_e32 v[156:157], v[154:155], v[150:151]
	s_delay_alu instid0(VALU_DEP_1)
	v_fma_f64 v[185:186], v[152:153], v[148:149], -v[156:157]
	v_mul_f64_e32 v[152:153], v[152:153], v[150:151]
	ds_load_b128 v[156:159], v174 offset:24192
	v_fma_f64 v[187:188], v[154:155], v[148:149], v[152:153]
	global_load_b128 v[152:155], v[181:182], off offset:24096
	s_wait_loadcnt_dscnt 0x0
	v_mul_f64_e32 v[160:161], v[158:159], v[154:155]
	s_delay_alu instid0(VALU_DEP_1)
	v_fma_f64 v[193:194], v[156:157], v[152:153], -v[160:161]
	v_mul_f64_e32 v[156:157], v[156:157], v[154:155]
	ds_load_b128 v[160:163], v174 offset:27648
	v_fma_f64 v[195:196], v[158:159], v[152:153], v[156:157]
	global_load_b128 v[156:159], v[181:182], off offset:27552
	s_wait_loadcnt_dscnt 0x0
	v_mul_f64_e32 v[164:165], v[162:163], v[158:159]
	s_delay_alu instid0(VALU_DEP_1)
	v_fma_f64 v[201:202], v[160:161], v[156:157], -v[164:165]
	v_mul_f64_e32 v[160:161], v[160:161], v[158:159]
	ds_load_b128 v[164:167], v174 offset:31104
	v_add_f64_e64 v[201:202], v[197:198], -v[201:202]
	v_fma_f64 v[203:204], v[162:163], v[156:157], v[160:161]
	global_load_b128 v[160:163], v[181:182], off offset:31008
	v_fma_f64 v[197:198], v[197:198], 2.0, -v[201:202]
	v_add_f64_e64 v[203:204], v[199:200], -v[203:204]
	s_delay_alu instid0(VALU_DEP_1) | instskip(SKIP_2) | instid1(VALU_DEP_1)
	v_fma_f64 v[199:200], v[199:200], 2.0, -v[203:204]
	s_wait_loadcnt_dscnt 0x0
	v_mul_f64_e32 v[168:169], v[166:167], v[162:163]
	v_fma_f64 v[209:210], v[164:165], v[160:161], -v[168:169]
	v_mul_f64_e32 v[164:165], v[164:165], v[162:163]
	ds_load_b128 v[168:171], v174 offset:34560
	v_add_f64_e64 v[209:210], v[205:206], -v[209:210]
	v_fma_f64 v[211:212], v[166:167], v[160:161], v[164:165]
	global_load_b128 v[164:167], v[181:182], off offset:34464
	v_fma_f64 v[205:206], v[205:206], 2.0, -v[209:210]
	v_add_f64_e64 v[211:212], v[207:208], -v[211:212]
	s_delay_alu instid0(VALU_DEP_1) | instskip(SKIP_2) | instid1(VALU_DEP_1)
	v_fma_f64 v[207:208], v[207:208], 2.0, -v[211:212]
	s_wait_loadcnt_dscnt 0x0
	v_mul_f64_e32 v[183:184], v[170:171], v[166:167]
	v_fma_f64 v[217:218], v[168:169], v[164:165], -v[183:184]
	v_mul_f64_e32 v[168:169], v[168:169], v[166:167]
	s_delay_alu instid0(VALU_DEP_2) | instskip(NEXT) | instid1(VALU_DEP_2)
	v_add_f64_e64 v[217:218], v[213:214], -v[217:218]
	v_fma_f64 v[219:220], v[170:171], v[164:165], v[168:169]
	global_load_b128 v[168:171], v[181:182], off offset:37920
	ds_load_b128 v[181:184], v174 offset:38016
	v_fma_f64 v[213:214], v[213:214], 2.0, -v[217:218]
	v_add_f64_e64 v[219:220], v[215:216], -v[219:220]
	s_delay_alu instid0(VALU_DEP_1) | instskip(SKIP_2) | instid1(VALU_DEP_1)
	v_fma_f64 v[215:216], v[215:216], 2.0, -v[219:220]
	s_wait_loadcnt_dscnt 0x0
	v_mul_f64_e32 v[189:190], v[183:184], v[170:171]
	v_fma_f64 v[225:226], v[181:182], v[168:169], -v[189:190]
	v_mul_f64_e32 v[181:182], v[181:182], v[170:171]
	ds_load_b128 v[189:192], v174 offset:3456
	s_wait_dscnt 0x0
	v_add_f64_e64 v[193:194], v[189:190], -v[193:194]
	v_add_f64_e64 v[195:196], v[191:192], -v[195:196]
	;; [unrolled: 1-line block ×3, first 2 shown]
	v_fma_f64 v[227:228], v[183:184], v[168:169], v[181:182]
	ds_load_b128 v[181:184], v174
	s_wait_dscnt 0x0
	v_add_f64_e64 v[185:186], v[181:182], -v[185:186]
	v_add_f64_e64 v[187:188], v[183:184], -v[187:188]
	v_fma_f64 v[189:190], v[189:190], 2.0, -v[193:194]
	v_fma_f64 v[191:192], v[191:192], 2.0, -v[195:196]
	;; [unrolled: 1-line block ×3, first 2 shown]
	v_add_f64_e64 v[227:228], v[223:224], -v[227:228]
	v_fma_f64 v[181:182], v[181:182], 2.0, -v[185:186]
	v_fma_f64 v[183:184], v[183:184], 2.0, -v[187:188]
	s_delay_alu instid0(VALU_DEP_3)
	v_fma_f64 v[223:224], v[223:224], 2.0, -v[227:228]
	ds_store_b128 v174, v[185:188] offset:20736
	ds_store_b128 v174, v[193:196] offset:24192
	;; [unrolled: 1-line block ×6, first 2 shown]
	ds_store_b128 v174, v[181:184]
	ds_store_b128 v174, v[189:192] offset:3456
	ds_store_b128 v174, v[197:200] offset:6912
	ds_store_b128 v174, v[205:208] offset:10368
	ds_store_b128 v174, v[213:216] offset:13824
	ds_store_b128 v174, v[221:224] offset:17280
	global_wb scope:SCOPE_SE
	s_wait_dscnt 0x0
	s_barrier_signal -1
	s_barrier_wait -1
	global_inv scope:SCOPE_SE
	global_load_b128 v[181:184], v174, s[8:9] offset:41472
	ds_load_b128 v[185:188], v174
	ds_load_b128 v[221:224], v174 offset:3456
	s_add_nc_u64 s[8:9], s[8:9], 0xa200
	ds_load_b128 v[197:200], v174 offset:13824
	ds_load_b128 v[233:236], v174 offset:17280
	;; [unrolled: 1-line block ×9, first 2 shown]
	s_wait_loadcnt_dscnt 0xa
	v_mul_f64_e32 v[189:190], v[187:188], v[183:184]
	v_mul_f64_e32 v[191:192], v[185:186], v[183:184]
	s_delay_alu instid0(VALU_DEP_2) | instskip(NEXT) | instid1(VALU_DEP_2)
	v_fma_f64 v[183:184], v[185:186], v[181:182], -v[189:190]
	v_fma_f64 v[185:186], v[187:188], v[181:182], v[191:192]
	global_load_b128 v[187:190], v174, s[8:9] offset:6912
	ds_load_b128 v[191:194], v174 offset:6912
	s_wait_loadcnt_dscnt 0x0
	v_mul_f64_e32 v[181:182], v[193:194], v[189:190]
	v_mul_f64_e32 v[195:196], v[191:192], v[189:190]
	s_delay_alu instid0(VALU_DEP_2) | instskip(NEXT) | instid1(VALU_DEP_2)
	v_fma_f64 v[189:190], v[191:192], v[187:188], -v[181:182]
	v_fma_f64 v[191:192], v[193:194], v[187:188], v[195:196]
	global_load_b128 v[193:196], v174, s[8:9] offset:13824
	s_wait_loadcnt 0x0
	v_mul_f64_e32 v[181:182], v[199:200], v[195:196]
	v_mul_f64_e32 v[187:188], v[197:198], v[195:196]
	s_delay_alu instid0(VALU_DEP_2) | instskip(NEXT) | instid1(VALU_DEP_2)
	v_fma_f64 v[195:196], v[197:198], v[193:194], -v[181:182]
	v_fma_f64 v[197:198], v[199:200], v[193:194], v[187:188]
	global_load_b128 v[199:202], v174, s[8:9] offset:20736
	s_wait_loadcnt 0x0
	;; [unrolled: 7-line block ×10, first 2 shown]
	v_mul_f64_e32 v[181:182], v[253:254], v[249:250]
	v_mul_f64_e32 v[187:188], v[251:252], v[249:250]
	s_delay_alu instid0(VALU_DEP_2) | instskip(NEXT) | instid1(VALU_DEP_2)
	v_fma_f64 v[249:250], v[251:252], v[247:248], -v[181:182]
	v_fma_f64 v[251:252], v[253:254], v[247:248], v[187:188]
	ds_store_b128 v174, v[183:186]
	ds_store_b128 v174, v[219:222] offset:3456
	ds_store_b128 v174, v[189:192] offset:6912
	ds_store_b128 v174, v[225:228] offset:10368
	ds_store_b128 v174, v[195:198] offset:13824
	ds_store_b128 v174, v[231:234] offset:17280
	ds_store_b128 v174, v[201:204] offset:20736
	ds_store_b128 v174, v[237:240] offset:24192
	ds_store_b128 v174, v[207:210] offset:27648
	ds_store_b128 v174, v[243:246] offset:31104
	ds_store_b128 v174, v[213:216] offset:34560
	ds_store_b128 v174, v[249:252] offset:38016
	global_wb scope:SCOPE_SE
	s_wait_dscnt 0x0
	s_barrier_signal -1
	s_barrier_wait -1
	global_inv scope:SCOPE_SE
	ds_load_b128 v[181:184], v174 offset:13824
	ds_load_b128 v[185:188], v174
	ds_load_b128 v[189:192], v174 offset:27648
	s_wait_dscnt 0x1
	v_add_f64_e32 v[193:194], v[185:186], v[181:182]
	v_add_f64_e32 v[195:196], v[187:188], v[183:184]
	s_wait_dscnt 0x0
	v_add_f64_e32 v[197:198], v[181:182], v[189:190]
	v_add_f64_e32 v[199:200], v[183:184], v[191:192]
	v_add_f64_e64 v[201:202], v[183:184], -v[191:192]
	v_add_f64_e64 v[203:204], v[181:182], -v[189:190]
	v_add_f64_e32 v[205:206], v[193:194], v[189:190]
	v_add_f64_e32 v[207:208], v[195:196], v[191:192]
	ds_load_b128 v[181:184], v174 offset:20736
	ds_load_b128 v[189:192], v174 offset:6912
	;; [unrolled: 1-line block ×3, first 2 shown]
	v_fma_f64 v[197:198], v[197:198], -0.5, v[185:186]
	v_fma_f64 v[199:200], v[199:200], -0.5, v[187:188]
	s_wait_dscnt 0x1
	v_add_f64_e32 v[209:210], v[189:190], v[181:182]
	s_wait_dscnt 0x0
	v_add_f64_e32 v[213:214], v[183:184], v[195:196]
	v_add_f64_e32 v[211:212], v[191:192], v[183:184]
	;; [unrolled: 1-line block ×3, first 2 shown]
	v_add_f64_e64 v[219:220], v[181:182], -v[193:194]
	v_add_f64_e64 v[217:218], v[183:184], -v[195:196]
	v_add_f64_e32 v[193:194], v[209:210], v[193:194]
	v_fma_f64 v[209:210], v[213:214], -0.5, v[191:192]
	v_add_f64_e32 v[195:196], v[211:212], v[195:196]
	v_fma_f64 v[211:212], v[215:216], -0.5, v[189:190]
	s_delay_alu instid0(VALU_DEP_4) | instskip(NEXT) | instid1(VALU_DEP_4)
	v_add_f64_e32 v[181:182], v[205:206], v[193:194]
	v_fma_f64 v[189:190], v[219:220], s[2:3], v[209:210]
	v_add_f64_e64 v[185:186], v[205:206], -v[193:194]
	s_delay_alu instid0(VALU_DEP_4)
	v_fma_f64 v[193:194], v[217:218], s[12:13], v[211:212]
	v_add_f64_e32 v[183:184], v[207:208], v[195:196]
	v_add_f64_e64 v[187:188], v[207:208], -v[195:196]
	v_fma_f64 v[207:208], v[203:204], s[2:3], v[199:200]
	v_fma_f64 v[203:204], v[203:204], s[12:13], v[199:200]
	v_mul_f64_e32 v[191:192], s[12:13], v[189:190]
	v_mul_f64_e32 v[189:190], 0.5, v[189:190]
	s_delay_alu instid0(VALU_DEP_2) | instskip(NEXT) | instid1(VALU_DEP_2)
	v_fma_f64 v[195:196], v[193:194], 0.5, v[191:192]
	v_fma_f64 v[205:206], v[193:194], s[2:3], v[189:190]
	v_fma_f64 v[193:194], v[201:202], s[12:13], v[197:198]
	;; [unrolled: 1-line block ×4, first 2 shown]
	s_delay_alu instid0(VALU_DEP_4) | instskip(NEXT) | instid1(VALU_DEP_4)
	v_add_f64_e32 v[191:192], v[207:208], v[205:206]
	v_add_f64_e32 v[189:190], v[193:194], v[195:196]
	v_add_f64_e64 v[193:194], v[193:194], -v[195:196]
	v_add_f64_e64 v[195:196], v[207:208], -v[205:206]
	v_fma_f64 v[205:206], v[219:220], s[12:13], v[209:210]
	s_delay_alu instid0(VALU_DEP_1) | instskip(SKIP_1) | instid1(VALU_DEP_2)
	v_mul_f64_e32 v[199:200], s[12:13], v[205:206]
	v_mul_f64_e32 v[205:206], -0.5, v[205:206]
	v_fma_f64 v[207:208], v[197:198], -0.5, v[199:200]
	s_delay_alu instid0(VALU_DEP_2) | instskip(NEXT) | instid1(VALU_DEP_2)
	v_fma_f64 v[205:206], v[197:198], s[2:3], v[205:206]
	v_add_f64_e32 v[197:198], v[201:202], v[207:208]
	s_delay_alu instid0(VALU_DEP_2)
	v_add_f64_e32 v[199:200], v[203:204], v[205:206]
	v_add_f64_e64 v[201:202], v[201:202], -v[207:208]
	v_add_f64_e64 v[203:204], v[203:204], -v[205:206]
	ds_load_b128 v[205:208], v174 offset:3456
	ds_load_b128 v[209:212], v174 offset:17280
	;; [unrolled: 1-line block ×6, first 2 shown]
	global_wb scope:SCOPE_SE
	s_wait_dscnt 0x0
	s_barrier_signal -1
	s_barrier_wait -1
	global_inv scope:SCOPE_SE
	ds_store_b128 v176, v[181:184]
	ds_store_b128 v176, v[185:188] offset:48
	ds_store_b128 v176, v[189:192] offset:16
	;; [unrolled: 1-line block ×5, first 2 shown]
	v_add_f64_e32 v[181:182], v[205:206], v[209:210]
	v_add_f64_e32 v[183:184], v[207:208], v[211:212]
	;; [unrolled: 1-line block ×4, first 2 shown]
	v_add_f64_e64 v[199:200], v[209:210], -v[213:214]
	v_add_f64_e32 v[195:196], v[221:222], v[225:226]
	v_add_f64_e64 v[201:202], v[221:222], -v[225:226]
	v_add_f64_e32 v[187:188], v[211:212], v[215:216]
	v_add_f64_e64 v[197:198], v[211:212], -v[215:216]
	v_add_f64_e64 v[203:204], v[223:224], -v[227:228]
	v_add_f64_e32 v[189:190], v[181:182], v[213:214]
	v_add_f64_e32 v[181:182], v[217:218], v[221:222]
	;; [unrolled: 1-line block ×4, first 2 shown]
	v_fma_f64 v[213:214], v[193:194], -0.5, v[219:220]
	v_fma_f64 v[205:206], v[185:186], -0.5, v[205:206]
	;; [unrolled: 1-line block ×4, first 2 shown]
	v_add_f64_e32 v[209:210], v[181:182], v[225:226]
	v_add_f64_e32 v[211:212], v[183:184], v[227:228]
	s_delay_alu instid0(VALU_DEP_4) | instskip(SKIP_1) | instid1(VALU_DEP_4)
	v_fma_f64 v[193:194], v[203:204], s[12:13], v[215:216]
	v_fma_f64 v[203:204], v[203:204], s[2:3], v[215:216]
	v_add_f64_e32 v[181:182], v[189:190], v[209:210]
	v_add_f64_e64 v[185:186], v[189:190], -v[209:210]
	v_fma_f64 v[189:190], v[201:202], s[2:3], v[213:214]
	v_add_f64_e32 v[183:184], v[191:192], v[211:212]
	v_add_f64_e64 v[187:188], v[191:192], -v[211:212]
	v_fma_f64 v[201:202], v[201:202], s[12:13], v[213:214]
	v_fma_f64 v[211:212], v[199:200], s[2:3], v[207:208]
	;; [unrolled: 1-line block ×3, first 2 shown]
	v_mul_f64_e32 v[191:192], s[12:13], v[189:190]
	v_mul_f64_e32 v[189:190], 0.5, v[189:190]
	v_mul_f64_e32 v[199:200], -0.5, v[201:202]
	s_delay_alu instid0(VALU_DEP_3) | instskip(NEXT) | instid1(VALU_DEP_3)
	v_fma_f64 v[195:196], v[193:194], 0.5, v[191:192]
	v_fma_f64 v[209:210], v[193:194], s[2:3], v[189:190]
	v_fma_f64 v[193:194], v[197:198], s[12:13], v[205:206]
	;; [unrolled: 1-line block ×3, first 2 shown]
	v_mul_f64_e32 v[197:198], s[12:13], v[201:202]
	s_delay_alu instid0(VALU_DEP_4) | instskip(NEXT) | instid1(VALU_DEP_4)
	v_add_f64_e32 v[191:192], v[211:212], v[209:210]
	v_add_f64_e32 v[189:190], v[193:194], v[195:196]
	v_add_f64_e64 v[193:194], v[193:194], -v[195:196]
	s_delay_alu instid0(VALU_DEP_4) | instskip(SKIP_2) | instid1(VALU_DEP_3)
	v_fma_f64 v[201:202], v[203:204], -0.5, v[197:198]
	v_fma_f64 v[203:204], v[203:204], s[2:3], v[199:200]
	v_add_f64_e64 v[195:196], v[211:212], -v[209:210]
	v_add_f64_e32 v[197:198], v[205:206], v[201:202]
	s_delay_alu instid0(VALU_DEP_3)
	v_add_f64_e32 v[199:200], v[207:208], v[203:204]
	v_add_f64_e64 v[201:202], v[205:206], -v[201:202]
	v_add_f64_e64 v[203:204], v[207:208], -v[203:204]
	ds_store_b128 v175, v[181:184]
	ds_store_b128 v175, v[189:192] offset:16
	ds_store_b128 v175, v[197:200] offset:32
	;; [unrolled: 1-line block ×5, first 2 shown]
	global_wb scope:SCOPE_SE
	s_wait_dscnt 0x0
	s_barrier_signal -1
	s_barrier_wait -1
	global_inv scope:SCOPE_SE
	ds_load_b128 v[181:184], v174 offset:20736
	s_wait_dscnt 0x0
	v_mul_f64_e32 v[175:176], v[58:59], v[181:182]
	v_mul_f64_e32 v[58:59], v[58:59], v[183:184]
	s_delay_alu instid0(VALU_DEP_2) | instskip(NEXT) | instid1(VALU_DEP_2)
	v_fma_f64 v[175:176], v[56:57], v[183:184], -v[175:176]
	v_fma_f64 v[181:182], v[56:57], v[181:182], v[58:59]
	ds_load_b128 v[56:59], v174 offset:34560
	s_wait_dscnt 0x0
	v_mul_f64_e32 v[183:184], v[70:71], v[56:57]
	s_delay_alu instid0(VALU_DEP_1) | instskip(SKIP_1) | instid1(VALU_DEP_1)
	v_fma_f64 v[183:184], v[68:69], v[58:59], -v[183:184]
	v_mul_f64_e32 v[58:59], v[70:71], v[58:59]
	v_fma_f64 v[68:69], v[68:69], v[56:57], v[58:59]
	ds_load_b128 v[56:59], v174 offset:24192
	s_wait_dscnt 0x0
	v_mul_f64_e32 v[70:71], v[74:75], v[56:57]
	s_delay_alu instid0(VALU_DEP_1) | instskip(SKIP_1) | instid1(VALU_DEP_1)
	v_fma_f64 v[185:186], v[72:73], v[58:59], -v[70:71]
	v_mul_f64_e32 v[58:59], v[74:75], v[58:59]
	;; [unrolled: 7-line block ×3, first 2 shown]
	v_fma_f64 v[191:192], v[64:65], v[56:57], v[58:59]
	ds_load_b128 v[56:59], v174 offset:13824
	s_wait_dscnt 0x0
	v_mul_f64_e32 v[64:65], v[62:63], v[58:59]
	s_delay_alu instid0(VALU_DEP_1) | instskip(SKIP_1) | instid1(VALU_DEP_1)
	v_fma_f64 v[64:65], v[60:61], v[56:57], v[64:65]
	v_mul_f64_e32 v[56:57], v[62:63], v[56:57]
	v_fma_f64 v[60:61], v[60:61], v[58:59], -v[56:57]
	ds_load_b128 v[56:59], v174 offset:27648
	s_wait_dscnt 0x0
	v_mul_f64_e32 v[62:63], v[86:87], v[58:59]
	s_delay_alu instid0(VALU_DEP_1) | instskip(SKIP_1) | instid1(VALU_DEP_1)
	v_fma_f64 v[62:63], v[84:85], v[56:57], v[62:63]
	v_mul_f64_e32 v[56:57], v[86:87], v[56:57]
	v_fma_f64 v[66:67], v[84:85], v[58:59], -v[56:57]
	ds_load_b128 v[56:59], v174 offset:6912
	s_wait_dscnt 0x0
	v_mul_f64_e32 v[70:71], v[54:55], v[56:57]
	v_mul_f64_e32 v[54:55], v[54:55], v[58:59]
	s_delay_alu instid0(VALU_DEP_2) | instskip(NEXT) | instid1(VALU_DEP_2)
	v_fma_f64 v[70:71], v[52:53], v[58:59], -v[70:71]
	v_fma_f64 v[56:57], v[52:53], v[56:57], v[54:55]
	ds_load_b128 v[52:55], v174 offset:17280
	s_wait_dscnt 0x0
	v_mul_f64_e32 v[58:59], v[78:79], v[54:55]
	s_delay_alu instid0(VALU_DEP_1) | instskip(SKIP_1) | instid1(VALU_DEP_1)
	v_fma_f64 v[84:85], v[76:77], v[52:53], v[58:59]
	v_mul_f64_e32 v[52:53], v[78:79], v[52:53]
	v_fma_f64 v[76:77], v[76:77], v[54:55], -v[52:53]
	ds_load_b128 v[52:55], v174 offset:31104
	s_wait_dscnt 0x0
	v_mul_f64_e32 v[58:59], v[82:83], v[54:55]
	s_delay_alu instid0(VALU_DEP_1) | instskip(SKIP_1) | instid1(VALU_DEP_1)
	v_fma_f64 v[78:79], v[80:81], v[52:53], v[58:59]
	v_mul_f64_e32 v[52:53], v[82:83], v[52:53]
	v_fma_f64 v[80:81], v[80:81], v[54:55], -v[52:53]
	ds_load_b128 v[52:55], v174 offset:10368
	s_wait_dscnt 0x0
	v_mul_f64_e32 v[58:59], v[50:51], v[52:53]
	v_mul_f64_e32 v[50:51], v[50:51], v[54:55]
	s_delay_alu instid0(VALU_DEP_2) | instskip(NEXT) | instid1(VALU_DEP_2)
	v_fma_f64 v[82:83], v[48:49], v[54:55], -v[58:59]
	v_fma_f64 v[86:87], v[48:49], v[52:53], v[50:51]
	v_add_f64_e32 v[52:53], v[64:65], v[62:63]
	ds_load_b128 v[48:51], v174
	s_wait_dscnt 0x0
	v_fma_f64 v[72:73], v[52:53], -0.5, v[48:49]
	v_add_f64_e32 v[52:53], v[60:61], v[66:67]
	v_add_f64_e32 v[48:49], v[48:49], v[64:65]
	v_add_f64_e64 v[64:65], v[64:65], -v[62:63]
	s_delay_alu instid0(VALU_DEP_3) | instskip(NEXT) | instid1(VALU_DEP_3)
	v_fma_f64 v[74:75], v[52:53], -0.5, v[50:51]
	v_add_f64_e32 v[52:53], v[48:49], v[62:63]
	v_add_f64_e32 v[48:49], v[56:57], v[181:182]
	;; [unrolled: 1-line block ×3, first 2 shown]
	s_delay_alu instid0(VALU_DEP_2) | instskip(SKIP_1) | instid1(VALU_DEP_3)
	v_add_f64_e32 v[58:59], v[48:49], v[68:69]
	v_add_f64_e32 v[48:49], v[70:71], v[175:176]
	;; [unrolled: 1-line block ×3, first 2 shown]
	v_add_f64_e64 v[66:67], v[60:61], -v[66:67]
	s_delay_alu instid0(VALU_DEP_3)
	v_add_f64_e32 v[193:194], v[48:49], v[183:184]
	v_add_f64_e32 v[48:49], v[52:53], v[58:59]
	v_add_f64_e64 v[52:53], v[52:53], -v[58:59]
	v_add_f64_e32 v[58:59], v[181:182], v[68:69]
	v_add_f64_e64 v[68:69], v[181:182], -v[68:69]
	v_add_f64_e32 v[181:182], v[175:176], v[183:184]
	v_add_f64_e64 v[175:176], v[175:176], -v[183:184]
	v_add_f64_e32 v[50:51], v[54:55], v[193:194]
	v_add_f64_e64 v[54:55], v[54:55], -v[193:194]
	v_fma_f64 v[193:194], v[64:65], s[2:3], v[74:75]
	v_fma_f64 v[74:75], v[64:65], s[12:13], v[74:75]
	v_fma_f64 v[70:71], v[181:182], -0.5, v[70:71]
	v_fma_f64 v[181:182], v[58:59], -0.5, v[56:57]
	s_delay_alu instid0(VALU_DEP_2) | instskip(NEXT) | instid1(VALU_DEP_2)
	v_fma_f64 v[56:57], v[68:69], s[2:3], v[70:71]
	v_fma_f64 v[60:61], v[175:176], s[12:13], v[181:182]
	;; [unrolled: 1-line block ×4, first 2 shown]
	s_delay_alu instid0(VALU_DEP_4) | instskip(SKIP_1) | instid1(VALU_DEP_4)
	v_mul_f64_e32 v[58:59], s[12:13], v[56:57]
	v_mul_f64_e32 v[56:57], 0.5, v[56:57]
	v_mul_f64_e32 v[64:65], s[12:13], v[68:69]
	s_delay_alu instid0(VALU_DEP_3) | instskip(NEXT) | instid1(VALU_DEP_3)
	v_fma_f64 v[62:63], v[60:61], 0.5, v[58:59]
	v_fma_f64 v[183:184], v[60:61], s[2:3], v[56:57]
	v_fma_f64 v[60:61], v[66:67], s[12:13], v[72:73]
	;; [unrolled: 1-line block ×3, first 2 shown]
	v_mul_f64_e32 v[66:67], -0.5, v[68:69]
	v_fma_f64 v[68:69], v[70:71], -0.5, v[64:65]
	v_add_f64_e32 v[58:59], v[193:194], v[183:184]
	v_add_f64_e32 v[56:57], v[60:61], v[62:63]
	v_add_f64_e64 v[60:61], v[60:61], -v[62:63]
	v_fma_f64 v[70:71], v[70:71], s[2:3], v[66:67]
	v_add_f64_e32 v[64:65], v[72:73], v[68:69]
	v_add_f64_e64 v[62:63], v[193:194], -v[183:184]
	v_add_f64_e64 v[68:69], v[72:73], -v[68:69]
	s_delay_alu instid0(VALU_DEP_4)
	v_add_f64_e32 v[66:67], v[74:75], v[70:71]
	v_add_f64_e64 v[70:71], v[74:75], -v[70:71]
	ds_load_b128 v[72:75], v174 offset:3456
	global_wb scope:SCOPE_SE
	s_wait_dscnt 0x0
	s_barrier_signal -1
	s_barrier_wait -1
	global_inv scope:SCOPE_SE
	ds_store_b128 v178, v[48:51]
	ds_store_b128 v178, v[52:55] offset:288
	ds_store_b128 v178, v[56:59] offset:96
	;; [unrolled: 1-line block ×5, first 2 shown]
	v_add_f64_e32 v[48:49], v[84:85], v[78:79]
	v_add_f64_e32 v[50:51], v[74:75], v[76:77]
	v_add_f64_e64 v[68:69], v[187:188], -v[191:192]
	s_delay_alu instid0(VALU_DEP_3) | instskip(SKIP_1) | instid1(VALU_DEP_4)
	v_fma_f64 v[64:65], v[48:49], -0.5, v[72:73]
	v_add_f64_e32 v[48:49], v[76:77], v[80:81]
	v_add_f64_e32 v[54:55], v[50:51], v[80:81]
	s_delay_alu instid0(VALU_DEP_2) | instskip(SKIP_4) | instid1(VALU_DEP_4)
	v_fma_f64 v[66:67], v[48:49], -0.5, v[74:75]
	v_add_f64_e32 v[48:49], v[72:73], v[84:85]
	v_add_f64_e64 v[72:73], v[185:186], -v[189:190]
	v_add_f64_e64 v[74:75], v[76:77], -v[80:81]
	v_add_f64_e64 v[76:77], v[84:85], -v[78:79]
	v_add_f64_e32 v[52:53], v[48:49], v[78:79]
	v_add_f64_e32 v[48:49], v[86:87], v[187:188]
	s_delay_alu instid0(VALU_DEP_1) | instskip(SKIP_1) | instid1(VALU_DEP_1)
	v_add_f64_e32 v[56:57], v[48:49], v[191:192]
	v_add_f64_e32 v[48:49], v[82:83], v[185:186]
	;; [unrolled: 1-line block ×3, first 2 shown]
	s_delay_alu instid0(VALU_DEP_3) | instskip(SKIP_2) | instid1(VALU_DEP_4)
	v_add_f64_e32 v[48:49], v[52:53], v[56:57]
	v_add_f64_e64 v[52:53], v[52:53], -v[56:57]
	v_add_f64_e32 v[56:57], v[187:188], v[191:192]
	v_add_f64_e32 v[50:51], v[54:55], v[58:59]
	v_add_f64_e64 v[54:55], v[54:55], -v[58:59]
	v_add_f64_e32 v[58:59], v[185:186], v[189:190]
	s_delay_alu instid0(VALU_DEP_4) | instskip(NEXT) | instid1(VALU_DEP_2)
	v_fma_f64 v[78:79], v[56:57], -0.5, v[86:87]
	v_fma_f64 v[70:71], v[58:59], -0.5, v[82:83]
	s_delay_alu instid0(VALU_DEP_2) | instskip(SKIP_1) | instid1(VALU_DEP_3)
	v_fma_f64 v[60:61], v[72:73], s[12:13], v[78:79]
	v_fma_f64 v[82:83], v[76:77], s[2:3], v[66:67]
	;; [unrolled: 1-line block ×6, first 2 shown]
	s_delay_alu instid0(VALU_DEP_4) | instskip(SKIP_1) | instid1(VALU_DEP_2)
	v_mul_f64_e32 v[58:59], s[12:13], v[56:57]
	v_mul_f64_e32 v[56:57], 0.5, v[56:57]
	v_fma_f64 v[62:63], v[60:61], 0.5, v[58:59]
	s_delay_alu instid0(VALU_DEP_2)
	v_fma_f64 v[80:81], v[60:61], s[2:3], v[56:57]
	v_fma_f64 v[60:61], v[74:75], s[12:13], v[64:65]
	;; [unrolled: 1-line block ×3, first 2 shown]
	v_mul_f64_e32 v[64:65], s[12:13], v[68:69]
	v_mul_f64_e32 v[66:67], -0.5, v[68:69]
	v_add_f64_e32 v[58:59], v[82:83], v[80:81]
	v_add_f64_e32 v[56:57], v[60:61], v[62:63]
	v_add_f64_e64 v[60:61], v[60:61], -v[62:63]
	v_fma_f64 v[68:69], v[70:71], -0.5, v[64:65]
	v_fma_f64 v[70:71], v[70:71], s[2:3], v[66:67]
	v_add_f64_e64 v[62:63], v[82:83], -v[80:81]
	s_delay_alu instid0(VALU_DEP_3) | instskip(NEXT) | instid1(VALU_DEP_3)
	v_add_f64_e32 v[64:65], v[72:73], v[68:69]
	v_add_f64_e32 v[66:67], v[74:75], v[70:71]
	v_add_f64_e64 v[68:69], v[72:73], -v[68:69]
	v_add_f64_e64 v[70:71], v[74:75], -v[70:71]
	ds_store_b128 v177, v[48:51]
	ds_store_b128 v177, v[56:59] offset:96
	ds_store_b128 v177, v[64:67] offset:192
	;; [unrolled: 1-line block ×5, first 2 shown]
	global_wb scope:SCOPE_SE
	s_wait_dscnt 0x0
	s_barrier_signal -1
	s_barrier_wait -1
	global_inv scope:SCOPE_SE
	ds_load_b128 v[48:51], v174 offset:20736
	s_wait_dscnt 0x0
	v_mul_f64_e32 v[52:53], v[98:99], v[48:49]
	s_delay_alu instid0(VALU_DEP_1) | instskip(SKIP_1) | instid1(VALU_DEP_1)
	v_fma_f64 v[56:57], v[96:97], v[50:51], -v[52:53]
	v_mul_f64_e32 v[50:51], v[98:99], v[50:51]
	v_fma_f64 v[58:59], v[96:97], v[48:49], v[50:51]
	ds_load_b128 v[48:51], v174 offset:34560
	s_wait_dscnt 0x0
	v_mul_f64_e32 v[52:53], v[122:123], v[48:49]
	s_delay_alu instid0(VALU_DEP_1) | instskip(SKIP_1) | instid1(VALU_DEP_1)
	v_fma_f64 v[60:61], v[120:121], v[50:51], -v[52:53]
	v_mul_f64_e32 v[50:51], v[122:123], v[50:51]
	v_fma_f64 v[62:63], v[120:121], v[48:49], v[50:51]
	;; [unrolled: 7-line block ×3, first 2 shown]
	ds_load_b128 v[48:51], v174 offset:38016
	v_add_f64_e64 v[112:113], v[56:57], -v[60:61]
	s_wait_dscnt 0x0
	v_mul_f64_e32 v[52:53], v[118:119], v[48:49]
	s_delay_alu instid0(VALU_DEP_1) | instskip(SKIP_1) | instid1(VALU_DEP_1)
	v_fma_f64 v[80:81], v[116:117], v[50:51], -v[52:53]
	v_mul_f64_e32 v[50:51], v[118:119], v[50:51]
	v_fma_f64 v[82:83], v[116:117], v[48:49], v[50:51]
	ds_load_b128 v[48:51], v174 offset:13824
	s_wait_dscnt 0x0
	v_mul_f64_e32 v[52:53], v[106:107], v[50:51]
	s_delay_alu instid0(VALU_DEP_1) | instskip(SKIP_1) | instid1(VALU_DEP_1)
	v_fma_f64 v[64:65], v[104:105], v[48:49], v[52:53]
	v_mul_f64_e32 v[48:49], v[106:107], v[48:49]
	v_fma_f64 v[66:67], v[104:105], v[50:51], -v[48:49]
	ds_load_b128 v[48:51], v174 offset:27648
	s_wait_dscnt 0x0
	v_mul_f64_e32 v[52:53], v[134:135], v[50:51]
	s_delay_alu instid0(VALU_DEP_1) | instskip(SKIP_1) | instid1(VALU_DEP_1)
	v_fma_f64 v[68:69], v[132:133], v[48:49], v[52:53]
	v_mul_f64_e32 v[48:49], v[134:135], v[48:49]
	v_fma_f64 v[70:71], v[132:133], v[50:51], -v[48:49]
	ds_load_b128 v[48:51], v174 offset:6912
	s_wait_dscnt 0x0
	v_mul_f64_e32 v[52:53], v[94:95], v[48:49]
	s_delay_alu instid0(VALU_DEP_1) | instskip(SKIP_1) | instid1(VALU_DEP_1)
	v_fma_f64 v[72:73], v[92:93], v[50:51], -v[52:53]
	v_mul_f64_e32 v[50:51], v[94:95], v[50:51]
	v_fma_f64 v[74:75], v[92:93], v[48:49], v[50:51]
	ds_load_b128 v[48:51], v174 offset:17280
	s_wait_dscnt 0x0
	v_mul_f64_e32 v[52:53], v[126:127], v[50:51]
	s_delay_alu instid0(VALU_DEP_1) | instskip(SKIP_1) | instid1(VALU_DEP_1)
	v_fma_f64 v[84:85], v[124:125], v[48:49], v[52:53]
	v_mul_f64_e32 v[48:49], v[126:127], v[48:49]
	v_fma_f64 v[86:87], v[124:125], v[50:51], -v[48:49]
	ds_load_b128 v[48:51], v174 offset:31104
	s_wait_dscnt 0x0
	v_mul_f64_e32 v[52:53], v[130:131], v[50:51]
	s_delay_alu instid0(VALU_DEP_1) | instskip(SKIP_1) | instid1(VALU_DEP_1)
	v_fma_f64 v[92:93], v[128:129], v[48:49], v[52:53]
	v_mul_f64_e32 v[48:49], v[130:131], v[48:49]
	v_fma_f64 v[94:95], v[128:129], v[50:51], -v[48:49]
	ds_load_b128 v[48:51], v174 offset:10368
	s_wait_dscnt 0x0
	v_mul_f64_e32 v[52:53], v[90:91], v[48:49]
	s_delay_alu instid0(VALU_DEP_1) | instskip(SKIP_2) | instid1(VALU_DEP_2)
	v_fma_f64 v[96:97], v[88:89], v[50:51], -v[52:53]
	v_mul_f64_e32 v[50:51], v[90:91], v[50:51]
	v_add_f64_e32 v[52:53], v[64:65], v[68:69]
	v_fma_f64 v[88:89], v[88:89], v[48:49], v[50:51]
	ds_load_b128 v[48:51], v174
	s_wait_dscnt 0x0
	v_fma_f64 v[90:91], v[52:53], -0.5, v[48:49]
	v_add_f64_e32 v[52:53], v[66:67], v[70:71]
	v_add_f64_e32 v[48:49], v[48:49], v[64:65]
	v_add_f64_e64 v[64:65], v[64:65], -v[68:69]
	s_delay_alu instid0(VALU_DEP_3) | instskip(NEXT) | instid1(VALU_DEP_3)
	v_fma_f64 v[98:99], v[52:53], -0.5, v[50:51]
	v_add_f64_e32 v[52:53], v[48:49], v[68:69]
	v_add_f64_e32 v[48:49], v[74:75], v[58:59]
	;; [unrolled: 1-line block ×3, first 2 shown]
	v_add_f64_e64 v[66:67], v[66:67], -v[70:71]
	s_delay_alu instid0(VALU_DEP_3) | instskip(SKIP_1) | instid1(VALU_DEP_4)
	v_add_f64_e32 v[104:105], v[48:49], v[62:63]
	v_add_f64_e32 v[48:49], v[72:73], v[56:57]
	;; [unrolled: 1-line block ×3, first 2 shown]
	s_delay_alu instid0(VALU_DEP_2) | instskip(NEXT) | instid1(VALU_DEP_4)
	v_add_f64_e32 v[106:107], v[48:49], v[60:61]
	v_add_f64_e32 v[48:49], v[52:53], v[104:105]
	v_add_f64_e64 v[52:53], v[52:53], -v[104:105]
	v_add_f64_e32 v[104:105], v[58:59], v[62:63]
	s_delay_alu instid0(VALU_DEP_4)
	v_add_f64_e32 v[50:51], v[54:55], v[106:107]
	v_add_f64_e64 v[54:55], v[54:55], -v[106:107]
	v_add_f64_e64 v[106:107], v[58:59], -v[62:63]
	v_add_f64_e32 v[58:59], v[56:57], v[60:61]
	v_fma_f64 v[68:69], v[104:105], -0.5, v[74:75]
	v_fma_f64 v[74:75], v[64:65], s[2:3], v[98:99]
	s_delay_alu instid0(VALU_DEP_3) | instskip(NEXT) | instid1(VALU_DEP_3)
	v_fma_f64 v[72:73], v[58:59], -0.5, v[72:73]
	v_fma_f64 v[60:61], v[112:113], s[12:13], v[68:69]
	v_fma_f64 v[68:69], v[112:113], s[2:3], v[68:69]
	s_delay_alu instid0(VALU_DEP_3) | instskip(NEXT) | instid1(VALU_DEP_1)
	v_fma_f64 v[56:57], v[106:107], s[2:3], v[72:73]
	v_mul_f64_e32 v[58:59], s[12:13], v[56:57]
	v_mul_f64_e32 v[56:57], 0.5, v[56:57]
	s_delay_alu instid0(VALU_DEP_2) | instskip(NEXT) | instid1(VALU_DEP_2)
	v_fma_f64 v[62:63], v[60:61], 0.5, v[58:59]
	v_fma_f64 v[70:71], v[60:61], s[2:3], v[56:57]
	v_fma_f64 v[60:61], v[66:67], s[12:13], v[90:91]
	s_delay_alu instid0(VALU_DEP_2) | instskip(NEXT) | instid1(VALU_DEP_2)
	v_add_f64_e32 v[58:59], v[74:75], v[70:71]
	v_add_f64_e32 v[56:57], v[60:61], v[62:63]
	v_add_f64_e64 v[60:61], v[60:61], -v[62:63]
	v_add_f64_e64 v[62:63], v[74:75], -v[70:71]
	v_fma_f64 v[70:71], v[106:107], s[12:13], v[72:73]
	v_fma_f64 v[72:73], v[66:67], s[2:3], v[90:91]
	;; [unrolled: 1-line block ×3, first 2 shown]
	s_delay_alu instid0(VALU_DEP_3) | instskip(SKIP_1) | instid1(VALU_DEP_2)
	v_mul_f64_e32 v[64:65], s[12:13], v[70:71]
	v_mul_f64_e32 v[66:67], -0.5, v[70:71]
	v_fma_f64 v[70:71], v[68:69], -0.5, v[64:65]
	s_delay_alu instid0(VALU_DEP_2) | instskip(NEXT) | instid1(VALU_DEP_2)
	v_fma_f64 v[90:91], v[68:69], s[2:3], v[66:67]
	v_add_f64_e32 v[64:65], v[72:73], v[70:71]
	s_delay_alu instid0(VALU_DEP_2)
	v_add_f64_e32 v[66:67], v[74:75], v[90:91]
	v_add_f64_e64 v[68:69], v[72:73], -v[70:71]
	v_add_f64_e64 v[70:71], v[74:75], -v[90:91]
	ds_load_b128 v[72:75], v174 offset:3456
	global_wb scope:SCOPE_SE
	s_wait_dscnt 0x0
	s_barrier_signal -1
	s_barrier_wait -1
	global_inv scope:SCOPE_SE
	ds_store_b128 v180, v[48:51]
	ds_store_b128 v180, v[52:55] offset:1728
	ds_store_b128 v180, v[56:59] offset:576
	ds_store_b128 v180, v[64:67] offset:1152
	ds_store_b128 v180, v[60:63] offset:2304
	ds_store_b128 v180, v[68:71] offset:2880
	v_add_f64_e32 v[48:49], v[84:85], v[92:93]
	v_add_f64_e32 v[50:51], v[74:75], v[86:87]
	v_add_f64_e64 v[68:69], v[78:79], -v[82:83]
	s_delay_alu instid0(VALU_DEP_3) | instskip(SKIP_1) | instid1(VALU_DEP_4)
	v_fma_f64 v[64:65], v[48:49], -0.5, v[72:73]
	v_add_f64_e32 v[48:49], v[86:87], v[94:95]
	v_add_f64_e32 v[54:55], v[50:51], v[94:95]
	s_delay_alu instid0(VALU_DEP_2) | instskip(SKIP_3) | instid1(VALU_DEP_3)
	v_fma_f64 v[66:67], v[48:49], -0.5, v[74:75]
	v_add_f64_e32 v[48:49], v[72:73], v[84:85]
	v_add_f64_e64 v[72:73], v[76:77], -v[80:81]
	v_add_f64_e64 v[74:75], v[86:87], -v[94:95]
	v_add_f64_e32 v[52:53], v[48:49], v[92:93]
	v_add_f64_e32 v[48:49], v[88:89], v[78:79]
	s_delay_alu instid0(VALU_DEP_1) | instskip(SKIP_1) | instid1(VALU_DEP_1)
	v_add_f64_e32 v[56:57], v[48:49], v[82:83]
	v_add_f64_e32 v[48:49], v[96:97], v[76:77]
	;; [unrolled: 1-line block ×3, first 2 shown]
	s_delay_alu instid0(VALU_DEP_3) | instskip(SKIP_2) | instid1(VALU_DEP_4)
	v_add_f64_e32 v[48:49], v[52:53], v[56:57]
	v_add_f64_e64 v[52:53], v[52:53], -v[56:57]
	v_add_f64_e32 v[56:57], v[78:79], v[82:83]
	v_add_f64_e32 v[50:51], v[54:55], v[58:59]
	v_add_f64_e64 v[54:55], v[54:55], -v[58:59]
	v_add_f64_e32 v[58:59], v[76:77], v[80:81]
	s_delay_alu instid0(VALU_DEP_4) | instskip(SKIP_1) | instid1(VALU_DEP_3)
	v_fma_f64 v[78:79], v[56:57], -0.5, v[88:89]
	v_add_f64_e64 v[76:77], v[84:85], -v[92:93]
	v_fma_f64 v[70:71], v[58:59], -0.5, v[96:97]
	s_delay_alu instid0(VALU_DEP_3) | instskip(NEXT) | instid1(VALU_DEP_3)
	v_fma_f64 v[60:61], v[72:73], s[12:13], v[78:79]
	v_fma_f64 v[82:83], v[76:77], s[2:3], v[66:67]
	s_delay_alu instid0(VALU_DEP_3) | instskip(SKIP_3) | instid1(VALU_DEP_4)
	v_fma_f64 v[56:57], v[68:69], s[2:3], v[70:71]
	v_fma_f64 v[68:69], v[68:69], s[12:13], v[70:71]
	;; [unrolled: 1-line block ×4, first 2 shown]
	v_mul_f64_e32 v[58:59], s[12:13], v[56:57]
	v_mul_f64_e32 v[56:57], 0.5, v[56:57]
	s_delay_alu instid0(VALU_DEP_2) | instskip(NEXT) | instid1(VALU_DEP_2)
	v_fma_f64 v[62:63], v[60:61], 0.5, v[58:59]
	v_fma_f64 v[80:81], v[60:61], s[2:3], v[56:57]
	v_fma_f64 v[60:61], v[74:75], s[12:13], v[64:65]
	;; [unrolled: 1-line block ×3, first 2 shown]
	v_mul_f64_e32 v[64:65], s[12:13], v[68:69]
	v_mul_f64_e32 v[66:67], -0.5, v[68:69]
	v_add_f64_e32 v[58:59], v[82:83], v[80:81]
	v_add_f64_e32 v[56:57], v[60:61], v[62:63]
	v_add_f64_e64 v[60:61], v[60:61], -v[62:63]
	v_fma_f64 v[68:69], v[70:71], -0.5, v[64:65]
	v_fma_f64 v[70:71], v[70:71], s[2:3], v[66:67]
	v_add_f64_e64 v[62:63], v[82:83], -v[80:81]
	s_delay_alu instid0(VALU_DEP_3) | instskip(NEXT) | instid1(VALU_DEP_3)
	v_add_f64_e32 v[64:65], v[72:73], v[68:69]
	v_add_f64_e32 v[66:67], v[74:75], v[70:71]
	v_add_f64_e64 v[68:69], v[72:73], -v[68:69]
	v_add_f64_e64 v[70:71], v[74:75], -v[70:71]
	ds_store_b128 v179, v[48:51]
	ds_store_b128 v179, v[56:59] offset:576
	ds_store_b128 v179, v[64:67] offset:1152
	;; [unrolled: 1-line block ×5, first 2 shown]
	global_wb scope:SCOPE_SE
	s_wait_dscnt 0x0
	s_barrier_signal -1
	s_barrier_wait -1
	global_inv scope:SCOPE_SE
	ds_load_b128 v[48:51], v174 offset:20736
	s_wait_dscnt 0x0
	v_mul_f64_e32 v[52:53], v[110:111], v[48:49]
	s_delay_alu instid0(VALU_DEP_1) | instskip(SKIP_1) | instid1(VALU_DEP_1)
	v_fma_f64 v[64:65], v[108:109], v[50:51], -v[52:53]
	v_mul_f64_e32 v[50:51], v[110:111], v[50:51]
	v_fma_f64 v[66:67], v[108:109], v[48:49], v[50:51]
	ds_load_b128 v[48:51], v174 offset:24192
	s_wait_dscnt 0x0
	v_mul_f64_e32 v[52:53], v[110:111], v[48:49]
	s_delay_alu instid0(VALU_DEP_1) | instskip(SKIP_1) | instid1(VALU_DEP_1)
	v_fma_f64 v[80:81], v[108:109], v[50:51], -v[52:53]
	v_mul_f64_e32 v[50:51], v[110:111], v[50:51]
	v_fma_f64 v[82:83], v[108:109], v[48:49], v[50:51]
	ds_load_b128 v[48:51], v174 offset:34560
	s_wait_dscnt 0x0
	v_mul_f64_e32 v[52:53], v[138:139], v[48:49]
	s_delay_alu instid0(VALU_DEP_1) | instskip(SKIP_1) | instid1(VALU_DEP_2)
	v_fma_f64 v[68:69], v[136:137], v[50:51], -v[52:53]
	v_mul_f64_e32 v[50:51], v[138:139], v[50:51]
	v_add_f64_e64 v[116:117], v[64:65], -v[68:69]
	s_delay_alu instid0(VALU_DEP_2) | instskip(SKIP_3) | instid1(VALU_DEP_1)
	v_fma_f64 v[70:71], v[136:137], v[48:49], v[50:51]
	ds_load_b128 v[48:51], v174 offset:38016
	s_wait_dscnt 0x0
	v_mul_f64_e32 v[52:53], v[138:139], v[48:49]
	v_fma_f64 v[84:85], v[136:137], v[50:51], -v[52:53]
	v_mul_f64_e32 v[50:51], v[138:139], v[50:51]
	s_delay_alu instid0(VALU_DEP_1) | instskip(SKIP_3) | instid1(VALU_DEP_1)
	v_fma_f64 v[86:87], v[136:137], v[48:49], v[50:51]
	ds_load_b128 v[48:51], v174 offset:13824
	s_wait_dscnt 0x0
	v_mul_f64_e32 v[52:53], v[142:143], v[50:51]
	v_fma_f64 v[72:73], v[140:141], v[48:49], v[52:53]
	v_mul_f64_e32 v[48:49], v[142:143], v[48:49]
	s_delay_alu instid0(VALU_DEP_1) | instskip(SKIP_3) | instid1(VALU_DEP_1)
	v_fma_f64 v[74:75], v[140:141], v[50:51], -v[48:49]
	ds_load_b128 v[48:51], v174 offset:17280
	s_wait_dscnt 0x0
	v_mul_f64_e32 v[52:53], v[142:143], v[50:51]
	v_fma_f64 v[88:89], v[140:141], v[48:49], v[52:53]
	v_mul_f64_e32 v[48:49], v[142:143], v[48:49]
	s_delay_alu instid0(VALU_DEP_1) | instskip(SKIP_3) | instid1(VALU_DEP_1)
	v_fma_f64 v[90:91], v[140:141], v[50:51], -v[48:49]
	;; [unrolled: 7-line block ×3, first 2 shown]
	ds_load_b128 v[48:51], v174 offset:31104
	s_wait_dscnt 0x0
	v_mul_f64_e32 v[52:53], v[146:147], v[50:51]
	v_fma_f64 v[92:93], v[144:145], v[48:49], v[52:53]
	v_mul_f64_e32 v[48:49], v[146:147], v[48:49]
	s_delay_alu instid0(VALU_DEP_2) | instskip(NEXT) | instid1(VALU_DEP_2)
	v_add_f64_e32 v[60:61], v[88:89], v[92:93]
	v_fma_f64 v[94:95], v[144:145], v[50:51], -v[48:49]
	ds_load_b128 v[48:51], v174 offset:6912
	s_wait_dscnt 0x0
	v_mul_f64_e32 v[52:53], v[102:103], v[48:49]
	s_delay_alu instid0(VALU_DEP_1) | instskip(SKIP_1) | instid1(VALU_DEP_1)
	v_fma_f64 v[96:97], v[100:101], v[50:51], -v[52:53]
	v_mul_f64_e32 v[50:51], v[102:103], v[50:51]
	v_fma_f64 v[98:99], v[100:101], v[48:49], v[50:51]
	ds_load_b128 v[48:51], v174 offset:10368
	s_wait_dscnt 0x0
	v_mul_f64_e32 v[52:53], v[102:103], v[48:49]
	s_delay_alu instid0(VALU_DEP_1) | instskip(SKIP_2) | instid1(VALU_DEP_2)
	v_fma_f64 v[104:105], v[100:101], v[50:51], -v[52:53]
	v_mul_f64_e32 v[50:51], v[102:103], v[50:51]
	v_add_f64_e32 v[52:53], v[72:73], v[76:77]
	v_fma_f64 v[100:101], v[100:101], v[48:49], v[50:51]
	ds_load_b128 v[48:51], v174
	s_wait_dscnt 0x0
	v_fma_f64 v[102:103], v[52:53], -0.5, v[48:49]
	v_add_f64_e32 v[52:53], v[74:75], v[78:79]
	v_add_f64_e32 v[48:49], v[48:49], v[72:73]
	v_add_f64_e64 v[72:73], v[72:73], -v[76:77]
	s_delay_alu instid0(VALU_DEP_3) | instskip(NEXT) | instid1(VALU_DEP_3)
	v_fma_f64 v[106:107], v[52:53], -0.5, v[50:51]
	v_add_f64_e32 v[52:53], v[48:49], v[76:77]
	v_add_f64_e32 v[48:49], v[98:99], v[66:67]
	;; [unrolled: 1-line block ×3, first 2 shown]
	v_add_f64_e64 v[74:75], v[74:75], -v[78:79]
	s_delay_alu instid0(VALU_DEP_3) | instskip(SKIP_1) | instid1(VALU_DEP_4)
	v_add_f64_e32 v[56:57], v[48:49], v[70:71]
	v_add_f64_e32 v[48:49], v[96:97], v[64:65]
	;; [unrolled: 1-line block ×3, first 2 shown]
	s_delay_alu instid0(VALU_DEP_2) | instskip(NEXT) | instid1(VALU_DEP_4)
	v_add_f64_e32 v[58:59], v[48:49], v[68:69]
	v_add_f64_e32 v[48:49], v[52:53], v[56:57]
	v_add_f64_e64 v[52:53], v[52:53], -v[56:57]
	s_delay_alu instid0(VALU_DEP_3)
	v_add_f64_e32 v[50:51], v[54:55], v[58:59]
	v_add_f64_e64 v[54:55], v[54:55], -v[58:59]
	ds_load_b128 v[56:59], v174 offset:3456
	global_wb scope:SCOPE_SE
	s_wait_dscnt 0x0
	s_barrier_signal -1
	s_barrier_wait -1
	global_inv scope:SCOPE_SE
	v_fma_f64 v[108:109], v[60:61], -0.5, v[56:57]
	v_add_f64_e32 v[60:61], v[90:91], v[94:95]
	v_add_f64_e32 v[56:57], v[56:57], v[88:89]
	v_add_f64_e64 v[88:89], v[88:89], -v[92:93]
	s_delay_alu instid0(VALU_DEP_3) | instskip(NEXT) | instid1(VALU_DEP_3)
	v_fma_f64 v[110:111], v[60:61], -0.5, v[58:59]
	v_add_f64_e32 v[60:61], v[56:57], v[92:93]
	v_add_f64_e32 v[56:57], v[100:101], v[82:83]
	;; [unrolled: 1-line block ×3, first 2 shown]
	v_add_f64_e64 v[90:91], v[90:91], -v[94:95]
	s_delay_alu instid0(VALU_DEP_3) | instskip(SKIP_1) | instid1(VALU_DEP_4)
	v_add_f64_e32 v[112:113], v[56:57], v[86:87]
	v_add_f64_e32 v[56:57], v[104:105], v[80:81]
	;; [unrolled: 1-line block ×3, first 2 shown]
	s_delay_alu instid0(VALU_DEP_2) | instskip(NEXT) | instid1(VALU_DEP_4)
	v_add_f64_e32 v[114:115], v[56:57], v[84:85]
	v_add_f64_e32 v[56:57], v[60:61], v[112:113]
	v_add_f64_e64 v[60:61], v[60:61], -v[112:113]
	v_add_f64_e32 v[112:113], v[66:67], v[70:71]
	s_delay_alu instid0(VALU_DEP_4)
	v_add_f64_e32 v[58:59], v[62:63], v[114:115]
	v_add_f64_e64 v[62:63], v[62:63], -v[114:115]
	v_add_f64_e64 v[114:115], v[66:67], -v[70:71]
	v_add_f64_e32 v[66:67], v[64:65], v[68:69]
	v_fma_f64 v[76:77], v[112:113], -0.5, v[98:99]
	v_fma_f64 v[98:99], v[72:73], s[2:3], v[106:107]
	s_delay_alu instid0(VALU_DEP_3) | instskip(NEXT) | instid1(VALU_DEP_3)
	v_fma_f64 v[96:97], v[66:67], -0.5, v[96:97]
	v_fma_f64 v[68:69], v[116:117], s[12:13], v[76:77]
	v_fma_f64 v[76:77], v[116:117], s[2:3], v[76:77]
	s_delay_alu instid0(VALU_DEP_3) | instskip(NEXT) | instid1(VALU_DEP_1)
	v_fma_f64 v[64:65], v[114:115], s[2:3], v[96:97]
	v_mul_f64_e32 v[66:67], s[12:13], v[64:65]
	v_mul_f64_e32 v[64:65], 0.5, v[64:65]
	s_delay_alu instid0(VALU_DEP_2) | instskip(NEXT) | instid1(VALU_DEP_2)
	v_fma_f64 v[70:71], v[68:69], 0.5, v[66:67]
	v_fma_f64 v[78:79], v[68:69], s[2:3], v[64:65]
	v_fma_f64 v[68:69], v[74:75], s[12:13], v[102:103]
	s_delay_alu instid0(VALU_DEP_2) | instskip(NEXT) | instid1(VALU_DEP_2)
	v_add_f64_e32 v[66:67], v[98:99], v[78:79]
	v_add_f64_e32 v[64:65], v[68:69], v[70:71]
	v_add_f64_e64 v[68:69], v[68:69], -v[70:71]
	v_add_f64_e64 v[70:71], v[98:99], -v[78:79]
	v_fma_f64 v[78:79], v[114:115], s[12:13], v[96:97]
	v_fma_f64 v[96:97], v[74:75], s[2:3], v[102:103]
	;; [unrolled: 1-line block ×3, first 2 shown]
	s_delay_alu instid0(VALU_DEP_3) | instskip(SKIP_1) | instid1(VALU_DEP_2)
	v_mul_f64_e32 v[72:73], s[12:13], v[78:79]
	v_mul_f64_e32 v[74:75], -0.5, v[78:79]
	v_fma_f64 v[78:79], v[76:77], -0.5, v[72:73]
	s_delay_alu instid0(VALU_DEP_2) | instskip(NEXT) | instid1(VALU_DEP_2)
	v_fma_f64 v[102:103], v[76:77], s[2:3], v[74:75]
	v_add_f64_e32 v[72:73], v[96:97], v[78:79]
	s_delay_alu instid0(VALU_DEP_2)
	v_add_f64_e32 v[74:75], v[98:99], v[102:103]
	v_add_f64_e64 v[76:77], v[96:97], -v[78:79]
	v_add_f64_e64 v[78:79], v[98:99], -v[102:103]
	v_add_f64_e32 v[96:97], v[82:83], v[86:87]
	v_add_f64_e64 v[98:99], v[82:83], -v[86:87]
	v_add_f64_e32 v[82:83], v[80:81], v[84:85]
	s_delay_alu instid0(VALU_DEP_3) | instskip(SKIP_1) | instid1(VALU_DEP_3)
	v_fma_f64 v[92:93], v[96:97], -0.5, v[100:101]
	v_fma_f64 v[96:97], v[88:89], s[2:3], v[110:111]
	v_fma_f64 v[102:103], v[82:83], -0.5, v[104:105]
	v_add_f64_e64 v[104:105], v[80:81], -v[84:85]
	s_delay_alu instid0(VALU_DEP_2) | instskip(NEXT) | instid1(VALU_DEP_2)
	v_fma_f64 v[80:81], v[98:99], s[2:3], v[102:103]
	v_fma_f64 v[84:85], v[104:105], s[12:13], v[92:93]
	;; [unrolled: 1-line block ×3, first 2 shown]
	s_delay_alu instid0(VALU_DEP_3) | instskip(SKIP_1) | instid1(VALU_DEP_2)
	v_mul_f64_e32 v[82:83], s[12:13], v[80:81]
	v_mul_f64_e32 v[80:81], 0.5, v[80:81]
	v_fma_f64 v[86:87], v[84:85], 0.5, v[82:83]
	s_delay_alu instid0(VALU_DEP_2) | instskip(SKIP_1) | instid1(VALU_DEP_2)
	v_fma_f64 v[94:95], v[84:85], s[2:3], v[80:81]
	v_fma_f64 v[84:85], v[90:91], s[12:13], v[108:109]
	v_add_f64_e32 v[82:83], v[96:97], v[94:95]
	s_delay_alu instid0(VALU_DEP_2)
	v_add_f64_e32 v[80:81], v[84:85], v[86:87]
	v_add_f64_e64 v[84:85], v[84:85], -v[86:87]
	v_add_f64_e64 v[86:87], v[96:97], -v[94:95]
	v_fma_f64 v[94:95], v[98:99], s[12:13], v[102:103]
	v_fma_f64 v[96:97], v[90:91], s[2:3], v[108:109]
	;; [unrolled: 1-line block ×3, first 2 shown]
	s_delay_alu instid0(VALU_DEP_3) | instskip(SKIP_1) | instid1(VALU_DEP_2)
	v_mul_f64_e32 v[88:89], s[12:13], v[94:95]
	v_mul_f64_e32 v[90:91], -0.5, v[94:95]
	v_fma_f64 v[94:95], v[92:93], -0.5, v[88:89]
	s_delay_alu instid0(VALU_DEP_2) | instskip(SKIP_1) | instid1(VALU_DEP_2)
	v_fma_f64 v[100:101], v[92:93], s[2:3], v[90:91]
	s_mul_u64 s[2:3], s[4:5], 0x1b00
	v_add_f64_e32 v[88:89], v[96:97], v[94:95]
	s_delay_alu instid0(VALU_DEP_2)
	v_add_f64_e32 v[90:91], v[98:99], v[100:101]
	v_add_f64_e64 v[92:93], v[96:97], -v[94:95]
	v_add_f64_e64 v[94:95], v[98:99], -v[100:101]
	ds_store_b128 v174, v[48:51]
	ds_store_b128 v174, v[52:55] offset:10368
	ds_store_b128 v174, v[56:59] offset:20736
	;; [unrolled: 1-line block ×11, first 2 shown]
	global_wb scope:SCOPE_SE
	s_wait_dscnt 0x0
	s_barrier_signal -1
	s_barrier_wait -1
	global_inv scope:SCOPE_SE
	ds_load_b128 v[48:51], v174 offset:20736
	ds_load_b128 v[64:67], v174 offset:6912
	;; [unrolled: 1-line block ×5, first 2 shown]
	s_wait_dscnt 0x4
	v_mul_f64_e32 v[52:53], v[150:151], v[50:51]
	s_delay_alu instid0(VALU_DEP_1) | instskip(SKIP_1) | instid1(VALU_DEP_1)
	v_fma_f64 v[52:53], v[148:149], v[48:49], v[52:53]
	v_mul_f64_e32 v[48:49], v[150:151], v[48:49]
	v_fma_f64 v[54:55], v[148:149], v[50:51], -v[48:49]
	ds_load_b128 v[48:51], v174 offset:24192
	s_wait_dscnt 0x0
	v_mul_f64_e32 v[56:57], v[154:155], v[50:51]
	s_delay_alu instid0(VALU_DEP_1) | instskip(SKIP_1) | instid1(VALU_DEP_1)
	v_fma_f64 v[60:61], v[152:153], v[48:49], v[56:57]
	v_mul_f64_e32 v[48:49], v[154:155], v[48:49]
	v_fma_f64 v[62:63], v[152:153], v[50:51], -v[48:49]
	ds_load_b128 v[48:51], v174 offset:27648
	s_wait_dscnt 0x0
	v_mul_f64_e32 v[56:57], v[158:159], v[50:51]
	s_delay_alu instid0(VALU_DEP_1) | instskip(SKIP_1) | instid1(VALU_DEP_2)
	v_fma_f64 v[68:69], v[156:157], v[48:49], v[56:57]
	v_mul_f64_e32 v[48:49], v[158:159], v[48:49]
	v_add_f64_e64 v[68:69], v[64:65], -v[68:69]
	s_delay_alu instid0(VALU_DEP_2)
	v_fma_f64 v[70:71], v[156:157], v[50:51], -v[48:49]
	ds_load_b128 v[48:51], v174 offset:31104
	s_wait_dscnt 0x0
	v_mul_f64_e32 v[56:57], v[162:163], v[50:51]
	v_fma_f64 v[64:65], v[64:65], 2.0, -v[68:69]
	v_add_f64_e64 v[70:71], v[66:67], -v[70:71]
	s_delay_alu instid0(VALU_DEP_3) | instskip(SKIP_1) | instid1(VALU_DEP_3)
	v_fma_f64 v[76:77], v[160:161], v[48:49], v[56:57]
	v_mul_f64_e32 v[48:49], v[162:163], v[48:49]
	v_fma_f64 v[66:67], v[66:67], 2.0, -v[70:71]
	s_delay_alu instid0(VALU_DEP_3) | instskip(NEXT) | instid1(VALU_DEP_3)
	v_add_f64_e64 v[76:77], v[72:73], -v[76:77]
	v_fma_f64 v[78:79], v[160:161], v[50:51], -v[48:49]
	ds_load_b128 v[48:51], v174 offset:34560
	s_wait_dscnt 0x0
	v_mul_f64_e32 v[56:57], v[166:167], v[50:51]
	v_fma_f64 v[72:73], v[72:73], 2.0, -v[76:77]
	v_add_f64_e64 v[78:79], v[74:75], -v[78:79]
	s_delay_alu instid0(VALU_DEP_3) | instskip(SKIP_1) | instid1(VALU_DEP_3)
	v_fma_f64 v[84:85], v[164:165], v[48:49], v[56:57]
	v_mul_f64_e32 v[48:49], v[166:167], v[48:49]
	v_fma_f64 v[74:75], v[74:75], 2.0, -v[78:79]
	s_delay_alu instid0(VALU_DEP_3) | instskip(NEXT) | instid1(VALU_DEP_3)
	v_add_f64_e64 v[84:85], v[80:81], -v[84:85]
	v_fma_f64 v[86:87], v[164:165], v[50:51], -v[48:49]
	ds_load_b128 v[48:51], v174 offset:38016
	s_wait_dscnt 0x0
	v_mul_f64_e32 v[56:57], v[170:171], v[50:51]
	v_fma_f64 v[80:81], v[80:81], 2.0, -v[84:85]
	v_add_f64_e64 v[86:87], v[82:83], -v[86:87]
	s_delay_alu instid0(VALU_DEP_3)
	v_fma_f64 v[92:93], v[168:169], v[48:49], v[56:57]
	v_mul_f64_e32 v[48:49], v[170:171], v[48:49]
	ds_load_b128 v[56:59], v174 offset:3456
	v_fma_f64 v[82:83], v[82:83], 2.0, -v[86:87]
	s_wait_dscnt 0x0
	v_add_f64_e64 v[60:61], v[56:57], -v[60:61]
	v_add_f64_e64 v[62:63], v[58:59], -v[62:63]
	;; [unrolled: 1-line block ×3, first 2 shown]
	v_fma_f64 v[94:95], v[168:169], v[50:51], -v[48:49]
	ds_load_b128 v[48:51], v174
	s_wait_dscnt 0x0
	v_add_f64_e64 v[52:53], v[48:49], -v[52:53]
	v_add_f64_e64 v[54:55], v[50:51], -v[54:55]
	v_fma_f64 v[56:57], v[56:57], 2.0, -v[60:61]
	v_fma_f64 v[58:59], v[58:59], 2.0, -v[62:63]
	v_fma_f64 v[88:89], v[88:89], 2.0, -v[92:93]
	v_add_f64_e64 v[94:95], v[90:91], -v[94:95]
	v_fma_f64 v[48:49], v[48:49], 2.0, -v[52:53]
	v_fma_f64 v[50:51], v[50:51], 2.0, -v[54:55]
	s_delay_alu instid0(VALU_DEP_3)
	v_fma_f64 v[90:91], v[90:91], 2.0, -v[94:95]
	ds_store_b128 v174, v[52:55] offset:20736
	ds_store_b128 v174, v[60:63] offset:24192
	;; [unrolled: 1-line block ×6, first 2 shown]
	ds_store_b128 v174, v[48:51]
	ds_store_b128 v174, v[56:59] offset:3456
	ds_store_b128 v174, v[64:67] offset:6912
	;; [unrolled: 1-line block ×5, first 2 shown]
	global_wb scope:SCOPE_SE
	s_wait_dscnt 0x0
	s_barrier_signal -1
	s_barrier_wait -1
	global_inv scope:SCOPE_SE
	ds_load_b128 v[48:51], v174
	s_wait_dscnt 0x0
	v_mul_f64_e32 v[52:53], v[2:3], v[50:51]
	v_mul_f64_e32 v[2:3], v[2:3], v[48:49]
	s_delay_alu instid0(VALU_DEP_2) | instskip(NEXT) | instid1(VALU_DEP_2)
	v_fma_f64 v[52:53], v[0:1], v[48:49], v[52:53]
	v_fma_f64 v[48:49], v[0:1], v[50:51], -v[2:3]
	ds_load_b128 v[0:3], v174 offset:6912
	s_wait_dscnt 0x0
	v_mul_f64_e32 v[50:51], v[6:7], v[2:3]
	s_delay_alu instid0(VALU_DEP_1) | instskip(SKIP_1) | instid1(VALU_DEP_1)
	v_fma_f64 v[50:51], v[4:5], v[0:1], v[50:51]
	v_mul_f64_e32 v[0:1], v[6:7], v[0:1]
	v_fma_f64 v[4:5], v[4:5], v[2:3], -v[0:1]
	ds_load_b128 v[0:3], v174 offset:13824
	s_wait_dscnt 0x0
	v_mul_f64_e32 v[6:7], v[10:11], v[2:3]
	s_delay_alu instid0(VALU_DEP_1) | instskip(SKIP_1) | instid1(VALU_DEP_1)
	v_fma_f64 v[6:7], v[8:9], v[0:1], v[6:7]
	v_mul_f64_e32 v[0:1], v[10:11], v[0:1]
	;; [unrolled: 7-line block ×11, first 2 shown]
	v_fma_f64 v[44:45], v[44:45], v[2:3], -v[0:1]
	v_mad_co_u64_u32 v[0:1], null, s6, v172, 0
	s_delay_alu instid0(VALU_DEP_1) | instskip(SKIP_1) | instid1(VALU_DEP_2)
	v_mad_co_u64_u32 v[1:2], null, s7, v172, v[1:2]
	v_mad_co_u64_u32 v[2:3], null, s4, v173, 0
	v_lshlrev_b64_e32 v[0:1], 4, v[0:1]
	s_delay_alu instid0(VALU_DEP_2) | instskip(SKIP_1) | instid1(VALU_DEP_1)
	v_mad_co_u64_u32 v[46:47], null, s5, v173, v[3:4]
	s_mulk_i32 s5, 0x8680
	v_mov_b32_e32 v3, v46
	s_delay_alu instid0(VALU_DEP_3) | instskip(SKIP_2) | instid1(VALU_DEP_3)
	v_add_co_u32 v46, vcc_lo, s0, v0
	s_wait_alu 0xfffd
	v_add_co_ci_u32_e32 v47, vcc_lo, s1, v1, vcc_lo
	v_lshlrev_b64_e32 v[0:1], 4, v[2:3]
	s_mov_b32 s0, 0xfcd6e9e0
	s_mov_b32 s1, 0x3f3948b0
	s_wait_alu 0xfffe
	v_mul_f64_e32 v[2:3], s[0:1], v[48:49]
	s_delay_alu instid0(VALU_DEP_2)
	v_add_co_u32 v46, vcc_lo, v46, v0
	s_wait_alu 0xfffd
	v_add_co_ci_u32_e32 v47, vcc_lo, v47, v1, vcc_lo
	v_mul_f64_e32 v[0:1], s[0:1], v[52:53]
	global_store_b128 v[46:47], v[0:3], off
	v_mul_f64_e32 v[0:1], s[0:1], v[50:51]
	v_mul_f64_e32 v[2:3], s[0:1], v[4:5]
	v_add_co_u32 v4, vcc_lo, v46, s2
	s_wait_alu 0xfffd
	v_add_co_ci_u32_e32 v5, vcc_lo, s3, v47, vcc_lo
	global_store_b128 v[4:5], v[0:3], off
	v_mul_f64_e32 v[0:1], s[0:1], v[6:7]
	v_mul_f64_e32 v[2:3], s[0:1], v[8:9]
	v_add_co_u32 v4, vcc_lo, v4, s2
	s_wait_alu 0xfffd
	v_add_co_ci_u32_e32 v5, vcc_lo, s3, v5, vcc_lo
	v_mul_f64_e32 v[6:7], s[0:1], v[44:45]
	global_store_b128 v[4:5], v[0:3], off
	v_mul_f64_e32 v[0:1], s[0:1], v[10:11]
	v_mul_f64_e32 v[2:3], s[0:1], v[12:13]
	v_add_co_u32 v4, vcc_lo, v4, s2
	s_wait_alu 0xfffd
	v_add_co_ci_u32_e32 v5, vcc_lo, s3, v5, vcc_lo
	global_store_b128 v[4:5], v[0:3], off
	v_mul_f64_e32 v[0:1], s[0:1], v[14:15]
	v_mul_f64_e32 v[2:3], s[0:1], v[16:17]
	v_add_co_u32 v4, vcc_lo, v4, s2
	s_wait_alu 0xfffd
	v_add_co_ci_u32_e32 v5, vcc_lo, s3, v5, vcc_lo
	;; [unrolled: 6-line block ×3, first 2 shown]
	global_store_b128 v[4:5], v[0:3], off
	v_mul_f64_e32 v[0:1], s[0:1], v[22:23]
	v_mul_f64_e32 v[2:3], s[0:1], v[24:25]
	v_mad_co_u64_u32 v[4:5], null, 0xffff8680, s4, v[4:5]
	s_sub_co_i32 s4, s5, s4
	s_wait_alu 0xfffe
	s_delay_alu instid0(VALU_DEP_1)
	v_add_nc_u32_e32 v5, s4, v5
	global_store_b128 v[4:5], v[0:3], off
	v_mul_f64_e32 v[0:1], s[0:1], v[26:27]
	v_mul_f64_e32 v[2:3], s[0:1], v[28:29]
	v_add_co_u32 v4, vcc_lo, v4, s2
	s_wait_alu 0xfffd
	v_add_co_ci_u32_e32 v5, vcc_lo, s3, v5, vcc_lo
	global_store_b128 v[4:5], v[0:3], off
	v_mul_f64_e32 v[0:1], s[0:1], v[30:31]
	v_mul_f64_e32 v[2:3], s[0:1], v[32:33]
	v_add_co_u32 v4, vcc_lo, v4, s2
	s_wait_alu 0xfffd
	v_add_co_ci_u32_e32 v5, vcc_lo, s3, v5, vcc_lo
	s_delay_alu instid0(VALU_DEP_2) | instskip(SKIP_1) | instid1(VALU_DEP_2)
	v_add_co_u32 v8, vcc_lo, v4, s2
	s_wait_alu 0xfffd
	v_add_co_ci_u32_e32 v9, vcc_lo, s3, v5, vcc_lo
	global_store_b128 v[4:5], v[0:3], off
	v_mul_f64_e32 v[0:1], s[0:1], v[34:35]
	v_mul_f64_e32 v[2:3], s[0:1], v[36:37]
	;; [unrolled: 1-line block ×3, first 2 shown]
	global_store_b128 v[8:9], v[0:3], off
	v_mul_f64_e32 v[0:1], s[0:1], v[38:39]
	v_mul_f64_e32 v[2:3], s[0:1], v[40:41]
	v_add_co_u32 v8, vcc_lo, v8, s2
	s_wait_alu 0xfffd
	v_add_co_ci_u32_e32 v9, vcc_lo, s3, v9, vcc_lo
	s_delay_alu instid0(VALU_DEP_2) | instskip(SKIP_1) | instid1(VALU_DEP_2)
	v_add_co_u32 v10, vcc_lo, v8, s2
	s_wait_alu 0xfffd
	v_add_co_ci_u32_e32 v11, vcc_lo, s3, v9, vcc_lo
	global_store_b128 v[8:9], v[0:3], off
	global_store_b128 v[10:11], v[4:7], off
.LBB0_2:
	s_nop 0
	s_sendmsg sendmsg(MSG_DEALLOC_VGPRS)
	s_endpgm
	.section	.rodata,"a",@progbits
	.p2align	6, 0x0
	.amdhsa_kernel bluestein_single_fwd_len2592_dim1_dp_op_CI_CI
		.amdhsa_group_segment_fixed_size 41472
		.amdhsa_private_segment_fixed_size 0
		.amdhsa_kernarg_size 104
		.amdhsa_user_sgpr_count 2
		.amdhsa_user_sgpr_dispatch_ptr 0
		.amdhsa_user_sgpr_queue_ptr 0
		.amdhsa_user_sgpr_kernarg_segment_ptr 1
		.amdhsa_user_sgpr_dispatch_id 0
		.amdhsa_user_sgpr_private_segment_size 0
		.amdhsa_wavefront_size32 1
		.amdhsa_uses_dynamic_stack 0
		.amdhsa_enable_private_segment 0
		.amdhsa_system_sgpr_workgroup_id_x 1
		.amdhsa_system_sgpr_workgroup_id_y 0
		.amdhsa_system_sgpr_workgroup_id_z 0
		.amdhsa_system_sgpr_workgroup_info 0
		.amdhsa_system_vgpr_workitem_id 0
		.amdhsa_next_free_vgpr 255
		.amdhsa_next_free_sgpr 20
		.amdhsa_reserve_vcc 1
		.amdhsa_float_round_mode_32 0
		.amdhsa_float_round_mode_16_64 0
		.amdhsa_float_denorm_mode_32 3
		.amdhsa_float_denorm_mode_16_64 3
		.amdhsa_fp16_overflow 0
		.amdhsa_workgroup_processor_mode 1
		.amdhsa_memory_ordered 1
		.amdhsa_forward_progress 0
		.amdhsa_round_robin_scheduling 0
		.amdhsa_exception_fp_ieee_invalid_op 0
		.amdhsa_exception_fp_denorm_src 0
		.amdhsa_exception_fp_ieee_div_zero 0
		.amdhsa_exception_fp_ieee_overflow 0
		.amdhsa_exception_fp_ieee_underflow 0
		.amdhsa_exception_fp_ieee_inexact 0
		.amdhsa_exception_int_div_zero 0
	.end_amdhsa_kernel
	.text
.Lfunc_end0:
	.size	bluestein_single_fwd_len2592_dim1_dp_op_CI_CI, .Lfunc_end0-bluestein_single_fwd_len2592_dim1_dp_op_CI_CI
                                        ; -- End function
	.section	.AMDGPU.csdata,"",@progbits
; Kernel info:
; codeLenInByte = 14612
; NumSgprs: 22
; NumVgprs: 255
; ScratchSize: 0
; MemoryBound: 0
; FloatMode: 240
; IeeeMode: 1
; LDSByteSize: 41472 bytes/workgroup (compile time only)
; SGPRBlocks: 2
; VGPRBlocks: 31
; NumSGPRsForWavesPerEU: 22
; NumVGPRsForWavesPerEU: 255
; Occupancy: 5
; WaveLimiterHint : 1
; COMPUTE_PGM_RSRC2:SCRATCH_EN: 0
; COMPUTE_PGM_RSRC2:USER_SGPR: 2
; COMPUTE_PGM_RSRC2:TRAP_HANDLER: 0
; COMPUTE_PGM_RSRC2:TGID_X_EN: 1
; COMPUTE_PGM_RSRC2:TGID_Y_EN: 0
; COMPUTE_PGM_RSRC2:TGID_Z_EN: 0
; COMPUTE_PGM_RSRC2:TIDIG_COMP_CNT: 0
	.text
	.p2alignl 7, 3214868480
	.fill 96, 4, 3214868480
	.type	__hip_cuid_9b331f5796026e0d,@object ; @__hip_cuid_9b331f5796026e0d
	.section	.bss,"aw",@nobits
	.globl	__hip_cuid_9b331f5796026e0d
__hip_cuid_9b331f5796026e0d:
	.byte	0                               ; 0x0
	.size	__hip_cuid_9b331f5796026e0d, 1

	.ident	"AMD clang version 19.0.0git (https://github.com/RadeonOpenCompute/llvm-project roc-6.4.0 25133 c7fe45cf4b819c5991fe208aaa96edf142730f1d)"
	.section	".note.GNU-stack","",@progbits
	.addrsig
	.addrsig_sym __hip_cuid_9b331f5796026e0d
	.amdgpu_metadata
---
amdhsa.kernels:
  - .args:
      - .actual_access:  read_only
        .address_space:  global
        .offset:         0
        .size:           8
        .value_kind:     global_buffer
      - .actual_access:  read_only
        .address_space:  global
        .offset:         8
        .size:           8
        .value_kind:     global_buffer
      - .actual_access:  read_only
        .address_space:  global
        .offset:         16
        .size:           8
        .value_kind:     global_buffer
      - .actual_access:  read_only
        .address_space:  global
        .offset:         24
        .size:           8
        .value_kind:     global_buffer
      - .actual_access:  read_only
        .address_space:  global
        .offset:         32
        .size:           8
        .value_kind:     global_buffer
      - .offset:         40
        .size:           8
        .value_kind:     by_value
      - .address_space:  global
        .offset:         48
        .size:           8
        .value_kind:     global_buffer
      - .address_space:  global
        .offset:         56
        .size:           8
        .value_kind:     global_buffer
      - .address_space:  global
        .offset:         64
        .size:           8
        .value_kind:     global_buffer
      - .address_space:  global
        .offset:         72
        .size:           8
        .value_kind:     global_buffer
      - .offset:         80
        .size:           4
        .value_kind:     by_value
      - .address_space:  global
        .offset:         88
        .size:           8
        .value_kind:     global_buffer
      - .address_space:  global
        .offset:         96
        .size:           8
        .value_kind:     global_buffer
    .group_segment_fixed_size: 41472
    .kernarg_segment_align: 8
    .kernarg_segment_size: 104
    .language:       OpenCL C
    .language_version:
      - 2
      - 0
    .max_flat_workgroup_size: 216
    .name:           bluestein_single_fwd_len2592_dim1_dp_op_CI_CI
    .private_segment_fixed_size: 0
    .sgpr_count:     22
    .sgpr_spill_count: 0
    .symbol:         bluestein_single_fwd_len2592_dim1_dp_op_CI_CI.kd
    .uniform_work_group_size: 1
    .uses_dynamic_stack: false
    .vgpr_count:     255
    .vgpr_spill_count: 0
    .wavefront_size: 32
    .workgroup_processor_mode: 1
amdhsa.target:   amdgcn-amd-amdhsa--gfx1201
amdhsa.version:
  - 1
  - 2
...

	.end_amdgpu_metadata
